;; amdgpu-corpus repo=pytorch/pytorch kind=compiled arch=gfx1100 opt=O3
	.text
	.amdgcn_target "amdgcn-amd-amdhsa--gfx1100"
	.amdhsa_code_object_version 6
	.section	.text._ZN2at6native12_GLOBAL__N_121max_pool_forward_nhwcIdiEEvPKT_iT0_S6_S6_S6_S6_iiiiiiiiS6_S6_S6_S6_iiPS3_Pl,"axG",@progbits,_ZN2at6native12_GLOBAL__N_121max_pool_forward_nhwcIdiEEvPKT_iT0_S6_S6_S6_S6_iiiiiiiiS6_S6_S6_S6_iiPS3_Pl,comdat
	.globl	_ZN2at6native12_GLOBAL__N_121max_pool_forward_nhwcIdiEEvPKT_iT0_S6_S6_S6_S6_iiiiiiiiS6_S6_S6_S6_iiPS3_Pl ; -- Begin function _ZN2at6native12_GLOBAL__N_121max_pool_forward_nhwcIdiEEvPKT_iT0_S6_S6_S6_S6_iiiiiiiiS6_S6_S6_S6_iiPS3_Pl
	.p2align	8
	.type	_ZN2at6native12_GLOBAL__N_121max_pool_forward_nhwcIdiEEvPKT_iT0_S6_S6_S6_S6_iiiiiiiiS6_S6_S6_S6_iiPS3_Pl,@function
_ZN2at6native12_GLOBAL__N_121max_pool_forward_nhwcIdiEEvPKT_iT0_S6_S6_S6_S6_iiiiiiiiS6_S6_S6_S6_iiPS3_Pl: ; @_ZN2at6native12_GLOBAL__N_121max_pool_forward_nhwcIdiEEvPKT_iT0_S6_S6_S6_S6_iiiiiiiiS6_S6_S6_S6_iiPS3_Pl
; %bb.0:
	s_clause 0x1
	s_load_b128 s[4:7], s[0:1], 0x6c
	s_load_b128 s[8:11], s[0:1], 0x48
	v_bfe_u32 v5, v0, 10, 10
	v_bfe_u32 v2, v0, 20, 10
	v_and_b32_e32 v3, 0x3ff, v0
	s_mov_b32 s3, exec_lo
	s_waitcnt lgkmcnt(0)
	s_lshr_b32 s33, s6, 16
	s_and_b32 s6, s6, 0xffff
	v_mad_u32_u24 v8, v2, s33, v5
	s_mul_i32 s34, s6, s11
	s_and_b32 s7, s7, 0xffff
	s_mul_i32 s2, s34, s33
	s_delay_alu instid0(SALU_CYCLE_1) | instskip(SKIP_1) | instid1(VALU_DEP_1)
	s_mul_i32 s2, s2, s7
	v_mad_u64_u32 v[0:1], null, v8, s6, v[3:4]
	v_cmpx_gt_u32_e64 s2, v0
	s_cbranch_execz .LBB0_3
; %bb.1:
	v_dual_mov_b32 v7, 0xfff00000 :: v_dual_lshlrev_b32 v4, 3, v0
	s_lshl_b32 s16, s2, 2
	s_mul_i32 s12, s33, s6
	v_lshl_add_u32 v1, v0, 2, 0
	s_delay_alu instid0(VALU_DEP_2)
	v_add3_u32 v4, 0, s16, v4
	v_mov_b32_e32 v6, 0
	s_mul_i32 s12, s12, s7
	s_mov_b32 s16, 0
	s_lshl_b32 s17, s12, 3
	s_lshl_b32 s18, s12, 2
.LBB0_2:                                ; =>This Inner Loop Header: Depth=1
	v_add_nc_u32_e32 v0, s12, v0
	ds_store_b64 v4, v[6:7]
	ds_store_b32 v1, v6
	v_add_nc_u32_e32 v4, s17, v4
	v_add_nc_u32_e32 v1, s18, v1
	v_cmp_le_u32_e32 vcc_lo, s2, v0
	s_or_b32 s16, vcc_lo, s16
	s_delay_alu instid0(SALU_CYCLE_1)
	s_and_not1_b32 exec_lo, exec_lo, s16
	s_cbranch_execnz .LBB0_2
.LBB0_3:
	s_or_b32 exec_lo, exec_lo, s3
	v_cvt_f32_u32_e32 v0, s5
	s_load_b512 s[16:31], s[0:1], 0x8
	s_sub_i32 s12, 0, s5
	s_waitcnt lgkmcnt(0)
	s_barrier
	v_rcp_iflag_f32_e32 v0, v0
	buffer_gl0_inv
	v_mul_f32_e32 v0, 0x4f7ffffe, v0
	s_delay_alu instid0(VALU_DEP_1) | instskip(SKIP_1) | instid1(SALU_CYCLE_1)
	v_cvt_u32_f32_e32 v0, v0
	s_add_i32 s35, s20, s5
	s_add_i32 s35, s35, -1
	s_delay_alu instid0(VALU_DEP_1) | instskip(SKIP_1) | instid1(VALU_DEP_2)
	v_readfirstlane_b32 s3, v0
	v_cvt_f32_u32_e32 v0, s16
	s_mul_i32 s12, s12, s3
	s_delay_alu instid0(VALU_DEP_1) | instskip(SKIP_3) | instid1(SALU_CYCLE_1)
	v_rcp_iflag_f32_e32 v4, v0
	s_mul_hi_u32 s12, s3, s12
	v_cvt_f32_u32_e32 v0, s4
	s_add_i32 s3, s3, s12
	s_mul_hi_u32 s3, s35, s3
	s_delay_alu instid0(VALU_DEP_1) | instskip(SKIP_1) | instid1(SALU_CYCLE_1)
	v_rcp_iflag_f32_e32 v6, v0
	s_mul_i32 s12, s3, s5
	s_sub_i32 s12, s35, s12
	s_add_i32 s35, s3, 1
	s_sub_i32 s36, s12, s5
	s_cmp_ge_u32 s12, s5
	s_cselect_b32 s3, s35, s3
	s_cselect_b32 s12, s36, s12
	s_add_i32 s35, s3, 1
	s_cmp_ge_u32 s12, s5
	s_mov_b32 s12, exec_lo
	s_cselect_b32 s3, s35, s3
	s_delay_alu instid0(SALU_CYCLE_1) | instskip(SKIP_3) | instid1(VALU_DEP_1)
	v_mad_u64_u32 v[0:1], null, s3, s15, v[2:3]
	s_waitcnt_depctr 0xfff
	v_dual_mul_f32 v1, 0x4f7ffffe, v4 :: v_dual_mul_f32 v2, 0x4f7ffffe, v6
	s_mov_b32 s15, 0
	v_cvt_u32_f32_e32 v1, v1
	v_add_nc_u32_e32 v4, s3, v0
	s_delay_alu instid0(VALU_DEP_3) | instskip(NEXT) | instid1(VALU_DEP_3)
	v_cvt_u32_f32_e32 v2, v2
	v_readfirstlane_b32 s5, v1
	s_delay_alu instid0(VALU_DEP_3) | instskip(NEXT) | instid1(VALU_DEP_3)
	v_min_i32_e32 v32, s20, v4
	v_readfirstlane_b32 s3, v2
	s_delay_alu instid0(VALU_DEP_2)
	v_cmpx_lt_i32_e64 v0, v32
	s_cbranch_execz .LBB0_74
; %bb.4:
	s_sub_i32 s12, 0, s16
	s_sub_i32 s36, 0, s4
	s_mul_i32 s12, s12, s5
	s_mul_i32 s36, s36, s3
	s_mul_hi_u32 s12, s5, s12
	s_lshl_b32 s2, s2, 2
	s_add_i32 s5, s5, s12
	s_mul_hi_u32 s12, s3, s36
	s_mul_hi_u32 s5, s13, s5
	s_add_i32 s3, s3, s12
	s_mul_i32 s12, s5, s16
	s_add_i32 s35, s21, s4
	s_add_i32 s42, s2, 0
	s_sub_i32 s2, s13, s12
	s_add_i32 s35, s35, -1
	s_add_i32 s12, s5, 1
	s_sub_i32 s36, s2, s16
	s_load_b64 s[40:41], s[0:1], 0x0
	s_cmp_ge_u32 s2, s16
	s_mul_hi_u32 s43, s35, s3
	s_cselect_b32 s5, s12, s5
	s_cselect_b32 s2, s36, s2
	s_load_b128 s[36:39], s[0:1], 0x58
	s_add_i32 s12, s5, 1
	s_cmp_ge_u32 s2, s16
	s_mul_i32 s3, s20, s17
	s_cselect_b32 s5, s12, s5
	s_mul_i32 s3, s3, s21
	s_mul_i32 s2, s5, s16
	;; [unrolled: 1-line block ×3, first 2 shown]
	s_sub_i32 s2, s13, s2
	v_lshlrev_b32_e32 v9, 3, v3
	s_mul_i32 s12, s2, s30
	s_mul_i32 s2, s3, s2
	s_ashr_i32 s13, s12, 31
	s_ashr_i32 s3, s2, 31
	s_lshl_b64 s[12:13], s[12:13], 3
	v_mul_lo_u32 v7, s34, v8
	s_waitcnt lgkmcnt(0)
	s_add_u32 s16, s40, s12
	s_addc_u32 s20, s41, s13
	s_sub_i32 s0, s35, s0
	s_add_i32 s1, s43, 1
	s_sub_i32 s12, s0, s4
	s_cmp_ge_u32 s0, s4
	s_mul_i32 s41, s17, s33
	s_cselect_b32 s1, s1, s43
	s_cselect_b32 s0, s12, s0
	s_add_i32 s12, s1, 1
	s_cmp_ge_u32 s0, s4
	s_cselect_b32 s0, s12, s1
	s_add_i32 s1, s22, -1
	s_max_i32 s4, s22, s23
	s_mul_i32 s30, s1, s28
	s_add_i32 s1, s23, -1
	s_add_i32 s30, s30, 1
	s_mul_i32 s1, s1, s29
	s_mul_i32 s12, s6, s10
	s_add_i32 s22, s1, 1
	s_cmp_lt_i32 s4, 4
	s_cselect_b32 s1, -1, 0
	s_cmp_ge_u32 s12, s17
	s_cselect_b32 s4, -1, 0
	s_max_u32 s23, s28, 1
	s_lshl_b64 s[2:3], s[2:3], 3
	v_cvt_f32_u32_e32 v1, s23
	s_ashr_i32 s13, s12, 31
	s_lshl_b32 s34, s29, 1
	s_lshl_b32 s35, s6, 3
	s_lshl_b32 s40, s6, 2
	v_rcp_iflag_f32_e32 v6, v1
	v_mad_u64_u32 v[1:2], null, s5, s6, v[3:4]
	v_lshlrev_b32_e32 v10, 2, v3
	v_lshlrev_b32_e32 v2, 3, v8
	s_mul_i32 s5, s33, s7
	s_delay_alu instid0(VALU_DEP_1) | instid1(SALU_CYCLE_1)
	v_lshl_add_u32 v2, s5, 2, v2
	s_waitcnt_depctr 0xfff
	v_mad_u64_u32 v[3:4], null, s0, s14, v[5:6]
	v_mul_lo_u32 v4, v1, s31
	v_mul_f32_e32 v5, 0x4f7ffffe, v6
	v_mul_lo_u32 v6, s11, v8
	v_mul_lo_u32 v2, s11, v2
	v_lshlrev_b32_e32 v8, 3, v7
	v_lshlrev_b32_e32 v7, 2, v7
	v_cvt_u32_f32_e32 v11, v5
	v_add_nc_u32_e32 v12, s0, v3
	v_ashrrev_i32_e32 v5, 31, v4
	s_sub_i32 s0, 0, s23
	v_mul_lo_u32 v14, v6, s6
	v_mul_lo_u32 v13, s0, v11
	v_add3_u32 v37, 0, v7, v10
	v_lshlrev_b64 v[5:6], 3, v[4:5]
	v_min_i32_e32 v33, s21, v12
	v_cmp_gt_i32_e64 s0, s17, v1
	s_and_b32 s14, s1, s4
	s_mul_i32 s31, s10, s31
	s_lshl_b64 s[10:11], s[12:13], 3
	v_add_co_u32 v34, vcc_lo, s16, v5
	v_mul_lo_u32 v5, v2, s6
	v_add_co_ci_u32_e32 v35, vcc_lo, s20, v6, vcc_lo
	v_lshlrev_b32_e32 v6, 2, v14
	v_ashrrev_i32_e32 v2, 31, v1
	v_mul_hi_u32 v12, v11, v13
	v_cmp_lt_i32_e64 s1, v3, v33
	s_mul_i32 s31, s31, s6
	v_add3_u32 v39, v5, v9, 0
	v_add3_u32 v40, v6, v10, 0
	v_lshlrev_b64 v[5:6], 3, v[1:2]
	v_add_nc_u32_e32 v38, v11, v12
	s_delay_alu instid0(VALU_DEP_2) | instskip(SKIP_1) | instid1(VALU_DEP_4)
	v_add_co_u32 v2, vcc_lo, s2, v5
	v_mov_b32_e32 v5, 0
	v_add_co_ci_u32_e32 v41, vcc_lo, s3, v6, vcc_lo
	v_mov_b32_e32 v6, 0xfff00000
	v_add3_u32 v36, s42, v8, v9
	v_mad_u64_u32 v[7:8], null, s21, v0, v[3:4]
	s_mul_i32 s21, s21, s17
	s_delay_alu instid0(SALU_CYCLE_1) | instskip(NEXT) | instid1(VALU_DEP_1)
	s_mul_i32 s21, s21, s7
	v_mul_lo_u32 v42, s17, v7
	s_branch .LBB0_6
.LBB0_5:                                ;   in Loop: Header=BB0_6 Depth=1
	s_or_b32 exec_lo, exec_lo, s13
	v_add_nc_u32_e32 v0, s7, v0
	s_delay_alu instid0(VALU_DEP_2) | instskip(NEXT) | instid1(VALU_DEP_2)
	v_add_nc_u32_e32 v42, s21, v42
	v_cmp_ge_i32_e32 vcc_lo, v0, v32
	s_or_b32 s15, vcc_lo, s15
	s_delay_alu instid0(SALU_CYCLE_1)
	s_and_not1_b32 exec_lo, exec_lo, s15
	s_cbranch_execz .LBB0_74
.LBB0_6:                                ; =>This Loop Header: Depth=1
                                        ;     Child Loop BB0_9 Depth 2
                                        ;       Child Loop BB0_10 Depth 3
                                        ;       Child Loop BB0_63 Depth 3
                                        ;         Child Loop BB0_66 Depth 4
                                        ;           Child Loop BB0_69 Depth 5
                                        ;       Child Loop BB0_73 Depth 3
	s_and_saveexec_b32 s13, s1
	s_cbranch_execz .LBB0_5
; %bb.7:                                ;   in Loop: Header=BB0_6 Depth=1
	v_mul_lo_u32 v7, v0, s24
	v_mov_b32_e32 v44, v3
	s_mov_b32 s42, 0
	s_delay_alu instid0(VALU_DEP_3) | instskip(NEXT) | instid1(VALU_DEP_3)
	v_mov_b32_e32 v9, v42
	v_subrev_nc_u32_e32 v7, s26, v7
	s_delay_alu instid0(VALU_DEP_1) | instskip(NEXT) | instid1(VALU_DEP_1)
	v_add_nc_u32_e32 v8, s30, v7
	v_min_i32_e32 v43, s18, v8
	s_branch .LBB0_9
.LBB0_8:                                ;   in Loop: Header=BB0_9 Depth=2
	s_or_b32 exec_lo, exec_lo, s2
	v_add_nc_u32_e32 v44, s33, v44
	v_add_nc_u32_e32 v9, s41, v9
	s_delay_alu instid0(VALU_DEP_2) | instskip(SKIP_1) | instid1(SALU_CYCLE_1)
	v_cmp_ge_i32_e32 vcc_lo, v44, v33
	s_or_b32 s42, vcc_lo, s42
	s_and_not1_b32 exec_lo, exec_lo, s42
	s_cbranch_execz .LBB0_5
.LBB0_9:                                ;   Parent Loop BB0_6 Depth=1
                                        ; =>  This Loop Header: Depth=2
                                        ;       Child Loop BB0_10 Depth 3
                                        ;       Child Loop BB0_63 Depth 3
                                        ;         Child Loop BB0_66 Depth 4
                                        ;           Child Loop BB0_69 Depth 5
                                        ;       Child Loop BB0_73 Depth 3
	v_mul_lo_u32 v8, v44, s25
	s_mov_b32 s2, 0
	s_delay_alu instid0(VALU_DEP_1) | instskip(NEXT) | instid1(VALU_DEP_1)
	v_subrev_nc_u32_e32 v10, s27, v8
	v_mov_b32_e32 v46, v10
.LBB0_10:                               ;   Parent Loop BB0_6 Depth=1
                                        ;     Parent Loop BB0_9 Depth=2
                                        ; =>    This Inner Loop Header: Depth=3
	s_delay_alu instid0(VALU_DEP_1) | instskip(NEXT) | instid1(VALU_DEP_1)
	v_mov_b32_e32 v45, v46
	v_cmp_lt_i32_e32 vcc_lo, -1, v45
	v_add_nc_u32_e32 v46, s29, v45
	s_or_b32 s2, vcc_lo, s2
	s_delay_alu instid0(SALU_CYCLE_1)
	s_and_not1_b32 exec_lo, exec_lo, s2
	s_cbranch_execnz .LBB0_10
; %bb.11:                               ;   in Loop: Header=BB0_9 Depth=2
	s_or_b32 exec_lo, exec_lo, s2
	v_lshrrev_b32_e32 v8, 31, v7
	v_max_i32_e32 v11, 0, v7
	s_mov_b32 s3, -1
	s_delay_alu instid0(VALU_DEP_2) | instskip(NEXT) | instid1(VALU_DEP_1)
	v_add_nc_u32_e32 v12, v7, v8
	v_sub_nc_u32_e32 v11, v11, v12
	s_delay_alu instid0(VALU_DEP_1) | instskip(NEXT) | instid1(VALU_DEP_1)
	v_mul_hi_u32 v12, v11, v38
	v_mul_lo_u32 v13, v12, s23
	s_delay_alu instid0(VALU_DEP_1) | instskip(SKIP_1) | instid1(VALU_DEP_2)
	v_sub_nc_u32_e32 v11, v11, v13
	v_add_nc_u32_e32 v13, 1, v12
	v_subrev_nc_u32_e32 v14, s23, v11
	v_cmp_le_u32_e32 vcc_lo, s23, v11
	s_delay_alu instid0(VALU_DEP_2) | instskip(NEXT) | instid1(VALU_DEP_1)
	v_dual_cndmask_b32 v12, v12, v13 :: v_dual_cndmask_b32 v11, v11, v14
	v_add_nc_u32_e32 v13, 1, v12
	s_delay_alu instid0(VALU_DEP_2) | instskip(NEXT) | instid1(VALU_DEP_2)
	v_cmp_le_u32_e32 vcc_lo, s23, v11
	v_dual_mov_b32 v11, v7 :: v_dual_cndmask_b32 v12, v12, v13
	s_and_b32 vcc_lo, exec_lo, s14
	s_delay_alu instid0(VALU_DEP_1) | instskip(NEXT) | instid1(VALU_DEP_1)
	v_add_nc_u32_e32 v12, v8, v12
	v_mad_u64_u32 v[7:8], null, v12, s28, v[11:12]
	v_add_nc_u32_e32 v8, s22, v10
	s_delay_alu instid0(VALU_DEP_1) | instskip(NEXT) | instid1(VALU_DEP_3)
	v_min_i32_e32 v8, s19, v8
	v_cmp_lt_i32_e64 s2, v7, v43
	s_cbranch_vccnz .LBB0_14
; %bb.12:                               ;   in Loop: Header=BB0_9 Depth=2
	s_and_b32 vcc_lo, exec_lo, s3
	s_cbranch_vccnz .LBB0_60
.LBB0_13:                               ;   in Loop: Header=BB0_9 Depth=2
	s_and_saveexec_b32 s2, s0
	s_cbranch_execz .LBB0_8
	s_branch .LBB0_72
.LBB0_14:                               ;   in Loop: Header=BB0_9 Depth=2
	v_mul_lo_u32 v10, v7, s8
	v_mul_lo_u32 v26, v45, s9
	v_cmp_lt_i32_e32 vcc_lo, v45, v8
	s_delay_alu instid0(VALU_DEP_3) | instskip(NEXT) | instid1(VALU_DEP_3)
	v_ashrrev_i32_e32 v11, 31, v10
	v_ashrrev_i32_e32 v27, 31, v26
	s_delay_alu instid0(VALU_DEP_2) | instskip(SKIP_2) | instid1(VALU_DEP_3)
	v_lshlrev_b64 v[12:13], 3, v[10:11]
	v_mov_b32_e32 v10, 0
	v_mov_b32_e32 v11, 0
	v_add_co_u32 v16, s3, v34, v12
	s_delay_alu instid0(VALU_DEP_1) | instskip(NEXT) | instid1(VALU_DEP_3)
	v_add_co_ci_u32_e64 v17, s3, v35, v13, s3
	v_dual_mov_b32 v15, v11 :: v_dual_mov_b32 v14, v10
	s_and_b32 s3, s2, vcc_lo
	s_delay_alu instid0(SALU_CYCLE_1) | instskip(NEXT) | instid1(SALU_CYCLE_1)
	s_and_b32 s43, s0, s3
	s_and_saveexec_b32 s4, s43
	s_cbranch_execz .LBB0_16
; %bb.15:                               ;   in Loop: Header=BB0_9 Depth=2
	v_lshlrev_b64 v[12:13], 3, v[26:27]
	s_delay_alu instid0(VALU_DEP_1) | instskip(NEXT) | instid1(VALU_DEP_1)
	v_add_co_u32 v12, s3, v16, v12
	v_add_co_ci_u32_e64 v13, s3, v17, v13, s3
	global_load_b64 v[14:15], v[12:13], off
.LBB0_16:                               ;   in Loop: Header=BB0_9 Depth=2
	s_or_b32 exec_lo, exec_lo, s4
	v_mul_lo_u32 v28, v46, s9
	v_cmp_lt_i32_e64 s3, v46, v8
	s_delay_alu instid0(VALU_DEP_1) | instskip(NEXT) | instid1(SALU_CYCLE_1)
	s_and_b32 s4, s2, s3
	s_and_b32 s44, s0, s4
	s_delay_alu instid0(VALU_DEP_2)
	v_ashrrev_i32_e32 v29, 31, v28
	s_and_saveexec_b32 s5, s44
	s_cbranch_execz .LBB0_18
; %bb.17:                               ;   in Loop: Header=BB0_9 Depth=2
	s_delay_alu instid0(VALU_DEP_1) | instskip(NEXT) | instid1(VALU_DEP_1)
	v_lshlrev_b64 v[10:11], 3, v[28:29]
	v_add_co_u32 v10, s4, v16, v10
	s_delay_alu instid0(VALU_DEP_1)
	v_add_co_ci_u32_e64 v11, s4, v17, v11, s4
	global_load_b64 v[10:11], v[10:11], off
.LBB0_18:                               ;   in Loop: Header=BB0_9 Depth=2
	s_or_b32 exec_lo, exec_lo, s5
	v_dual_mov_b32 v12, 0 :: v_dual_add_nc_u32 v47, s34, v45
	v_mov_b32_e32 v13, 0
	s_delay_alu instid0(VALU_DEP_2) | instskip(SKIP_1) | instid1(VALU_DEP_3)
	v_mul_lo_u32 v30, v47, s9
	v_cmp_lt_i32_e64 s4, v47, v8
	v_dual_mov_b32 v19, v13 :: v_dual_mov_b32 v18, v12
	s_delay_alu instid0(VALU_DEP_2) | instskip(NEXT) | instid1(SALU_CYCLE_1)
	s_and_b32 s5, s2, s4
	s_and_b32 s45, s0, s5
	s_delay_alu instid0(VALU_DEP_3)
	v_ashrrev_i32_e32 v31, 31, v30
	s_and_saveexec_b32 s6, s45
	s_cbranch_execz .LBB0_20
; %bb.19:                               ;   in Loop: Header=BB0_9 Depth=2
	s_delay_alu instid0(VALU_DEP_1) | instskip(NEXT) | instid1(VALU_DEP_1)
	v_lshlrev_b64 v[18:19], 3, v[30:31]
	v_add_co_u32 v16, s5, v16, v18
	s_delay_alu instid0(VALU_DEP_1)
	v_add_co_ci_u32_e64 v17, s5, v17, v19, s5
	global_load_b64 v[18:19], v[16:17], off
.LBB0_20:                               ;   in Loop: Header=BB0_9 Depth=2
	s_or_b32 exec_lo, exec_lo, s6
	v_add_nc_u32_e32 v48, s28, v7
	s_delay_alu instid0(VALU_DEP_1) | instskip(SKIP_1) | instid1(VALU_DEP_2)
	v_mul_lo_u32 v16, v48, s8
	v_cmp_lt_i32_e64 s5, v48, v43
	v_ashrrev_i32_e32 v17, 31, v16
	s_delay_alu instid0(VALU_DEP_1) | instskip(NEXT) | instid1(VALU_DEP_1)
	v_lshlrev_b64 v[16:17], 3, v[16:17]
	v_add_co_u32 v20, s6, v34, v16
	s_delay_alu instid0(VALU_DEP_1) | instskip(SKIP_1) | instid1(SALU_CYCLE_1)
	v_add_co_ci_u32_e64 v21, s6, v35, v17, s6
	s_and_b32 s6, s5, vcc_lo
	s_and_b32 s46, s0, s6
	s_delay_alu instid0(SALU_CYCLE_1)
	s_and_saveexec_b32 s47, s46
	s_cbranch_execz .LBB0_22
; %bb.21:                               ;   in Loop: Header=BB0_9 Depth=2
	v_lshlrev_b64 v[12:13], 3, v[26:27]
	s_delay_alu instid0(VALU_DEP_1) | instskip(NEXT) | instid1(VALU_DEP_1)
	v_add_co_u32 v12, s6, v20, v12
	v_add_co_ci_u32_e64 v13, s6, v21, v13, s6
	global_load_b64 v[12:13], v[12:13], off
.LBB0_22:                               ;   in Loop: Header=BB0_9 Depth=2
	s_or_b32 exec_lo, exec_lo, s47
	v_mov_b32_e32 v16, 0
	v_mov_b32_e32 v17, 0
	s_and_b32 s6, s5, s3
	s_delay_alu instid0(SALU_CYCLE_1) | instskip(NEXT) | instid1(VALU_DEP_1)
	s_and_b32 s48, s0, s6
	v_dual_mov_b32 v23, v17 :: v_dual_mov_b32 v22, v16
	s_and_saveexec_b32 s47, s48
	s_cbranch_execz .LBB0_24
; %bb.23:                               ;   in Loop: Header=BB0_9 Depth=2
	v_lshlrev_b64 v[22:23], 3, v[28:29]
	s_delay_alu instid0(VALU_DEP_1) | instskip(NEXT) | instid1(VALU_DEP_1)
	v_add_co_u32 v22, s6, v20, v22
	v_add_co_ci_u32_e64 v23, s6, v21, v23, s6
	global_load_b64 v[22:23], v[22:23], off
.LBB0_24:                               ;   in Loop: Header=BB0_9 Depth=2
	s_or_b32 exec_lo, exec_lo, s47
	s_and_b32 s5, s5, s4
	s_delay_alu instid0(SALU_CYCLE_1) | instskip(NEXT) | instid1(SALU_CYCLE_1)
	s_and_b32 s47, s0, s5
	s_and_saveexec_b32 s6, s47
	s_cbranch_execz .LBB0_26
; %bb.25:                               ;   in Loop: Header=BB0_9 Depth=2
	v_lshlrev_b64 v[16:17], 3, v[30:31]
	s_delay_alu instid0(VALU_DEP_1) | instskip(NEXT) | instid1(VALU_DEP_1)
	v_add_co_u32 v16, s5, v20, v16
	v_add_co_ci_u32_e64 v17, s5, v21, v17, s5
	global_load_b64 v[16:17], v[16:17], off
.LBB0_26:                               ;   in Loop: Header=BB0_9 Depth=2
	s_or_b32 exec_lo, exec_lo, s6
	v_add_nc_u32_e32 v49, s28, v48
	s_delay_alu instid0(VALU_DEP_1) | instskip(NEXT) | instid1(VALU_DEP_1)
	v_mul_lo_u32 v20, v49, s8
	v_ashrrev_i32_e32 v21, 31, v20
	s_delay_alu instid0(VALU_DEP_1) | instskip(SKIP_3) | instid1(VALU_DEP_4)
	v_lshlrev_b64 v[24:25], 3, v[20:21]
	v_mov_b32_e32 v20, 0
	v_mov_b32_e32 v21, 0
	v_cmp_lt_i32_e64 s5, v49, v43
	v_add_co_u32 v50, s6, v34, v24
	s_delay_alu instid0(VALU_DEP_1) | instskip(NEXT) | instid1(VALU_DEP_4)
	v_add_co_ci_u32_e64 v51, s6, v35, v25, s6
	v_dual_mov_b32 v25, v21 :: v_dual_mov_b32 v24, v20
	s_delay_alu instid0(VALU_DEP_4) | instskip(NEXT) | instid1(SALU_CYCLE_1)
	s_and_b32 s6, s5, vcc_lo
	s_and_b32 s49, s0, s6
	s_delay_alu instid0(SALU_CYCLE_1)
	s_and_saveexec_b32 s6, s49
	s_cbranch_execz .LBB0_28
; %bb.27:                               ;   in Loop: Header=BB0_9 Depth=2
	v_lshlrev_b64 v[24:25], 3, v[26:27]
	s_delay_alu instid0(VALU_DEP_1) | instskip(NEXT) | instid1(VALU_DEP_2)
	v_add_co_u32 v24, vcc_lo, v50, v24
	v_add_co_ci_u32_e32 v25, vcc_lo, v51, v25, vcc_lo
	global_load_b64 v[24:25], v[24:25], off
.LBB0_28:                               ;   in Loop: Header=BB0_9 Depth=2
	s_or_b32 exec_lo, exec_lo, s6
	s_and_b32 s3, s5, s3
	s_delay_alu instid0(SALU_CYCLE_1) | instskip(NEXT) | instid1(SALU_CYCLE_1)
	s_and_b32 s6, s0, s3
	s_and_saveexec_b32 s3, s6
	s_cbranch_execz .LBB0_30
; %bb.29:                               ;   in Loop: Header=BB0_9 Depth=2
	v_lshlrev_b64 v[20:21], 3, v[28:29]
	s_delay_alu instid0(VALU_DEP_1) | instskip(NEXT) | instid1(VALU_DEP_2)
	v_add_co_u32 v20, vcc_lo, v50, v20
	v_add_co_ci_u32_e32 v21, vcc_lo, v51, v21, vcc_lo
	global_load_b64 v[20:21], v[20:21], off
.LBB0_30:                               ;   in Loop: Header=BB0_9 Depth=2
	s_or_b32 exec_lo, exec_lo, s3
	v_mov_b32_e32 v26, 0
	v_mov_b32_e32 v27, 0
	s_and_b32 s3, s5, s4
	s_delay_alu instid0(SALU_CYCLE_1) | instskip(NEXT) | instid1(SALU_CYCLE_1)
	s_and_b32 s4, s0, s3
	s_and_saveexec_b32 s3, s4
	s_cbranch_execz .LBB0_32
; %bb.31:                               ;   in Loop: Header=BB0_9 Depth=2
	v_lshlrev_b64 v[26:27], 3, v[30:31]
	s_delay_alu instid0(VALU_DEP_1) | instskip(NEXT) | instid1(VALU_DEP_2)
	v_add_co_u32 v26, vcc_lo, v50, v26
	v_add_co_ci_u32_e32 v27, vcc_lo, v51, v27, vcc_lo
	global_load_b64 v[26:27], v[26:27], off
.LBB0_32:                               ;   in Loop: Header=BB0_9 Depth=2
	s_or_b32 exec_lo, exec_lo, s3
	v_mul_lo_u32 v28, v7, s19
	s_and_saveexec_b32 s5, s43
	s_cbranch_execz .LBB0_35
; %bb.33:                               ;   in Loop: Header=BB0_9 Depth=2
	ds_load_b64 v[29:30], v36
	s_waitcnt vmcnt(0)
	v_cmp_u_f64_e64 s3, v[14:15], v[14:15]
	s_waitcnt lgkmcnt(0)
	v_cmp_gt_f64_e32 vcc_lo, v[14:15], v[29:30]
	s_delay_alu instid0(VALU_DEP_2) | instskip(NEXT) | instid1(SALU_CYCLE_1)
	s_or_b32 s3, s3, vcc_lo
	s_and_b32 exec_lo, exec_lo, s3
	s_cbranch_execz .LBB0_35
; %bb.34:                               ;   in Loop: Header=BB0_9 Depth=2
	v_add_nc_u32_e32 v29, v45, v28
	ds_store_b64 v36, v[14:15]
	ds_store_b32 v37, v29
.LBB0_35:                               ;   in Loop: Header=BB0_9 Depth=2
	s_or_b32 exec_lo, exec_lo, s5
	s_and_saveexec_b32 s5, s44
	s_cbranch_execz .LBB0_38
; %bb.36:                               ;   in Loop: Header=BB0_9 Depth=2
	s_waitcnt vmcnt(0)
	ds_load_b64 v[14:15], v36
	v_cmp_u_f64_e64 s3, v[10:11], v[10:11]
	s_waitcnt lgkmcnt(0)
	v_cmp_gt_f64_e32 vcc_lo, v[10:11], v[14:15]
	s_delay_alu instid0(VALU_DEP_2) | instskip(NEXT) | instid1(SALU_CYCLE_1)
	s_or_b32 s3, s3, vcc_lo
	s_and_b32 exec_lo, exec_lo, s3
	s_cbranch_execz .LBB0_38
; %bb.37:                               ;   in Loop: Header=BB0_9 Depth=2
	v_add_nc_u32_e32 v14, v46, v28
	ds_store_b64 v36, v[10:11]
	ds_store_b32 v37, v14
.LBB0_38:                               ;   in Loop: Header=BB0_9 Depth=2
	s_or_b32 exec_lo, exec_lo, s5
	s_and_saveexec_b32 s5, s45
	s_cbranch_execz .LBB0_41
; %bb.39:                               ;   in Loop: Header=BB0_9 Depth=2
	s_waitcnt vmcnt(0)
	ds_load_b64 v[10:11], v36
	v_cmp_u_f64_e64 s3, v[18:19], v[18:19]
	s_waitcnt lgkmcnt(0)
	v_cmp_gt_f64_e32 vcc_lo, v[18:19], v[10:11]
	s_delay_alu instid0(VALU_DEP_2) | instskip(NEXT) | instid1(SALU_CYCLE_1)
	s_or_b32 s3, s3, vcc_lo
	s_and_b32 exec_lo, exec_lo, s3
	s_cbranch_execz .LBB0_41
; %bb.40:                               ;   in Loop: Header=BB0_9 Depth=2
	v_add_nc_u32_e32 v10, v47, v28
	ds_store_b64 v36, v[18:19]
	ds_store_b32 v37, v10
.LBB0_41:                               ;   in Loop: Header=BB0_9 Depth=2
	s_or_b32 exec_lo, exec_lo, s5
	s_waitcnt vmcnt(0)
	v_mul_lo_u32 v10, v48, s19
	s_and_saveexec_b32 s5, s46
	s_cbranch_execz .LBB0_44
; %bb.42:                               ;   in Loop: Header=BB0_9 Depth=2
	ds_load_b64 v[14:15], v36
	v_cmp_u_f64_e64 s3, v[12:13], v[12:13]
	s_waitcnt lgkmcnt(0)
	v_cmp_gt_f64_e32 vcc_lo, v[12:13], v[14:15]
	s_delay_alu instid0(VALU_DEP_2) | instskip(NEXT) | instid1(SALU_CYCLE_1)
	s_or_b32 s3, s3, vcc_lo
	s_and_b32 exec_lo, exec_lo, s3
	s_cbranch_execz .LBB0_44
; %bb.43:                               ;   in Loop: Header=BB0_9 Depth=2
	v_add_nc_u32_e32 v11, v45, v10
	ds_store_b64 v36, v[12:13]
	ds_store_b32 v37, v11
.LBB0_44:                               ;   in Loop: Header=BB0_9 Depth=2
	s_or_b32 exec_lo, exec_lo, s5
	s_and_saveexec_b32 s5, s48
	s_cbranch_execz .LBB0_47
; %bb.45:                               ;   in Loop: Header=BB0_9 Depth=2
	ds_load_b64 v[11:12], v36
	v_cmp_u_f64_e64 s3, v[22:23], v[22:23]
	s_waitcnt lgkmcnt(0)
	v_cmp_gt_f64_e32 vcc_lo, v[22:23], v[11:12]
	s_delay_alu instid0(VALU_DEP_2) | instskip(NEXT) | instid1(SALU_CYCLE_1)
	s_or_b32 s3, s3, vcc_lo
	s_and_b32 exec_lo, exec_lo, s3
	s_cbranch_execz .LBB0_47
; %bb.46:                               ;   in Loop: Header=BB0_9 Depth=2
	v_add_nc_u32_e32 v11, v46, v10
	ds_store_b64 v36, v[22:23]
	ds_store_b32 v37, v11
.LBB0_47:                               ;   in Loop: Header=BB0_9 Depth=2
	s_or_b32 exec_lo, exec_lo, s5
	;; [unrolled: 17-line block ×3, first 2 shown]
	v_mul_lo_u32 v10, v49, s19
	s_and_saveexec_b32 s5, s49
	s_cbranch_execz .LBB0_53
; %bb.51:                               ;   in Loop: Header=BB0_9 Depth=2
	ds_load_b64 v[11:12], v36
	v_cmp_u_f64_e64 s3, v[24:25], v[24:25]
	s_waitcnt lgkmcnt(0)
	v_cmp_gt_f64_e32 vcc_lo, v[24:25], v[11:12]
	s_delay_alu instid0(VALU_DEP_2) | instskip(NEXT) | instid1(SALU_CYCLE_1)
	s_or_b32 s3, s3, vcc_lo
	s_and_b32 exec_lo, exec_lo, s3
	s_cbranch_execz .LBB0_53
; %bb.52:                               ;   in Loop: Header=BB0_9 Depth=2
	v_add_nc_u32_e32 v11, v45, v10
	ds_store_b64 v36, v[24:25]
	ds_store_b32 v37, v11
.LBB0_53:                               ;   in Loop: Header=BB0_9 Depth=2
	s_or_b32 exec_lo, exec_lo, s5
	s_and_saveexec_b32 s5, s6
	s_cbranch_execz .LBB0_56
; %bb.54:                               ;   in Loop: Header=BB0_9 Depth=2
	ds_load_b64 v[11:12], v36
	v_cmp_u_f64_e64 s3, v[20:21], v[20:21]
	s_waitcnt lgkmcnt(0)
	v_cmp_gt_f64_e32 vcc_lo, v[20:21], v[11:12]
	s_delay_alu instid0(VALU_DEP_2) | instskip(NEXT) | instid1(SALU_CYCLE_1)
	s_or_b32 s3, s3, vcc_lo
	s_and_b32 exec_lo, exec_lo, s3
	s_cbranch_execz .LBB0_56
; %bb.55:                               ;   in Loop: Header=BB0_9 Depth=2
	v_add_nc_u32_e32 v11, v46, v10
	ds_store_b64 v36, v[20:21]
	ds_store_b32 v37, v11
.LBB0_56:                               ;   in Loop: Header=BB0_9 Depth=2
	s_or_b32 exec_lo, exec_lo, s5
	;; [unrolled: 17-line block ×3, first 2 shown]
	s_branch .LBB0_13
.LBB0_60:                               ;   in Loop: Header=BB0_9 Depth=2
	s_delay_alu instid0(VALU_DEP_1)
	s_and_saveexec_b32 s4, s2
	s_cbranch_execz .LBB0_71
; %bb.61:                               ;   in Loop: Header=BB0_9 Depth=2
	v_cmp_lt_i32_e32 vcc_lo, v45, v8
	v_mov_b32_e32 v13, v7
	s_mov_b32 s5, 0
	s_branch .LBB0_63
.LBB0_62:                               ;   in Loop: Header=BB0_63 Depth=3
	s_or_b32 exec_lo, exec_lo, s6
	v_add_nc_u32_e32 v13, s28, v13
	s_delay_alu instid0(VALU_DEP_1) | instskip(NEXT) | instid1(VALU_DEP_1)
	v_cmp_ge_i32_e64 s2, v13, v43
	s_or_b32 s5, s2, s5
	s_delay_alu instid0(SALU_CYCLE_1)
	s_and_not1_b32 exec_lo, exec_lo, s5
	s_cbranch_execz .LBB0_71
.LBB0_63:                               ;   Parent Loop BB0_6 Depth=1
                                        ;     Parent Loop BB0_9 Depth=2
                                        ; =>    This Loop Header: Depth=3
                                        ;         Child Loop BB0_66 Depth 4
                                        ;           Child Loop BB0_69 Depth 5
	s_and_saveexec_b32 s6, vcc_lo
	s_cbranch_execz .LBB0_62
; %bb.64:                               ;   in Loop: Header=BB0_63 Depth=3
	v_mul_lo_u32 v10, v13, s8
	v_mul_lo_u32 v14, v13, s19
	v_mov_b32_e32 v17, v45
	s_mov_b32 s43, 0
	s_delay_alu instid0(VALU_DEP_3) | instskip(NEXT) | instid1(VALU_DEP_1)
	v_ashrrev_i32_e32 v11, 31, v10
	v_lshlrev_b64 v[10:11], 3, v[10:11]
	s_delay_alu instid0(VALU_DEP_1) | instskip(NEXT) | instid1(VALU_DEP_1)
	v_add_co_u32 v15, s2, s16, v10
	v_add_co_ci_u32_e64 v16, s2, s20, v11, s2
	s_branch .LBB0_66
.LBB0_65:                               ;   in Loop: Header=BB0_66 Depth=4
	s_set_inst_prefetch_distance 0x2
	s_or_b32 exec_lo, exec_lo, s44
	v_add_nc_u32_e32 v17, s29, v17
	s_delay_alu instid0(VALU_DEP_1) | instskip(NEXT) | instid1(VALU_DEP_1)
	v_cmp_ge_i32_e64 s2, v17, v8
	s_or_b32 s43, s2, s43
	s_delay_alu instid0(SALU_CYCLE_1)
	s_and_not1_b32 exec_lo, exec_lo, s43
	s_cbranch_execz .LBB0_62
.LBB0_66:                               ;   Parent Loop BB0_6 Depth=1
                                        ;     Parent Loop BB0_9 Depth=2
                                        ;       Parent Loop BB0_63 Depth=3
                                        ; =>      This Loop Header: Depth=4
                                        ;           Child Loop BB0_69 Depth 5
	s_and_saveexec_b32 s44, s0
	s_cbranch_execz .LBB0_65
; %bb.67:                               ;   in Loop: Header=BB0_66 Depth=4
	v_mul_lo_u32 v10, v17, s9
	v_dual_mov_b32 v19, v40 :: v_dual_add_nc_u32 v18, v17, v14
	v_dual_mov_b32 v20, v39 :: v_dual_mov_b32 v23, v1
	s_mov_b32 s45, 0
	s_delay_alu instid0(VALU_DEP_3) | instskip(NEXT) | instid1(VALU_DEP_1)
	v_ashrrev_i32_e32 v11, 31, v10
	v_lshlrev_b64 v[11:12], 3, v[10:11]
	v_mov_b32_e32 v10, v4
	s_delay_alu instid0(VALU_DEP_2) | instskip(NEXT) | instid1(VALU_DEP_1)
	v_add_co_u32 v21, s2, v15, v11
	v_add_co_ci_u32_e64 v22, s2, v16, v12, s2
	s_set_inst_prefetch_distance 0x1
	s_branch .LBB0_69
	.p2align	6
.LBB0_68:                               ;   in Loop: Header=BB0_69 Depth=5
	s_or_b32 exec_lo, exec_lo, s2
	v_add_nc_u32_e32 v23, s12, v23
	v_add_nc_u32_e32 v10, s31, v10
	;; [unrolled: 1-line block ×4, first 2 shown]
	s_delay_alu instid0(VALU_DEP_4) | instskip(NEXT) | instid1(VALU_DEP_1)
	v_cmp_le_i32_e64 s2, s17, v23
	s_or_b32 s45, s2, s45
	s_delay_alu instid0(SALU_CYCLE_1)
	s_and_not1_b32 exec_lo, exec_lo, s45
	s_cbranch_execz .LBB0_65
.LBB0_69:                               ;   Parent Loop BB0_6 Depth=1
                                        ;     Parent Loop BB0_9 Depth=2
                                        ;       Parent Loop BB0_63 Depth=3
                                        ;         Parent Loop BB0_66 Depth=4
                                        ; =>        This Inner Loop Header: Depth=5
	v_ashrrev_i32_e32 v11, 31, v10
	ds_load_b64 v[24:25], v20
	v_lshlrev_b64 v[11:12], 3, v[10:11]
	s_delay_alu instid0(VALU_DEP_1) | instskip(NEXT) | instid1(VALU_DEP_1)
	v_add_co_u32 v11, s2, v21, v11
	v_add_co_ci_u32_e64 v12, s2, v22, v12, s2
	global_load_b64 v[11:12], v[11:12], off
	s_waitcnt vmcnt(0) lgkmcnt(0)
	v_cmp_gt_f64_e64 s2, v[11:12], v[24:25]
	v_cmp_u_f64_e64 s3, v[11:12], v[11:12]
	s_delay_alu instid0(VALU_DEP_1) | instskip(NEXT) | instid1(SALU_CYCLE_1)
	s_or_b32 s3, s3, s2
	s_and_saveexec_b32 s2, s3
	s_cbranch_execz .LBB0_68
; %bb.70:                               ;   in Loop: Header=BB0_69 Depth=5
	ds_store_b64 v20, v[11:12]
	ds_store_b32 v19, v18
	s_branch .LBB0_68
.LBB0_71:                               ;   in Loop: Header=BB0_9 Depth=2
	s_or_b32 exec_lo, exec_lo, s4
	s_and_saveexec_b32 s2, s0
	s_cbranch_execz .LBB0_8
.LBB0_72:                               ;   in Loop: Header=BB0_9 Depth=2
	v_ashrrev_i32_e32 v10, 31, v9
	v_dual_mov_b32 v8, v40 :: v_dual_mov_b32 v13, v1
	s_mov_b32 s3, 0
	s_delay_alu instid0(VALU_DEP_2) | instskip(SKIP_1) | instid1(VALU_DEP_2)
	v_lshlrev_b64 v[11:12], 3, v[9:10]
	v_mov_b32_e32 v10, v39
	v_add_co_u32 v11, vcc_lo, v2, v11
	s_delay_alu instid0(VALU_DEP_3)
	v_add_co_ci_u32_e32 v12, vcc_lo, v41, v12, vcc_lo
	.p2align	6
.LBB0_73:                               ;   Parent Loop BB0_6 Depth=1
                                        ;     Parent Loop BB0_9 Depth=2
                                        ; =>    This Inner Loop Header: Depth=3
	ds_load_b32 v14, v8
	ds_load_b64 v[16:17], v10
	v_add_co_u32 v18, vcc_lo, s36, v11
	v_add_co_ci_u32_e32 v19, vcc_lo, s37, v12, vcc_lo
	v_add_co_u32 v20, vcc_lo, s38, v11
	v_add_nc_u32_e32 v13, s12, v13
	v_add_co_ci_u32_e32 v21, vcc_lo, s39, v12, vcc_lo
	v_add_co_u32 v11, vcc_lo, v11, s10
	v_add_co_ci_u32_e32 v12, vcc_lo, s11, v12, vcc_lo
	s_delay_alu instid0(VALU_DEP_4)
	v_cmp_le_i32_e32 vcc_lo, s17, v13
	ds_store_b64 v10, v[5:6]
	ds_store_b32 v8, v5
	v_add_nc_u32_e32 v10, s35, v10
	v_add_nc_u32_e32 v8, s40, v8
	s_or_b32 s3, vcc_lo, s3
	s_waitcnt lgkmcnt(3)
	v_ashrrev_i32_e32 v15, 31, v14
	s_waitcnt lgkmcnt(2)
	global_store_b64 v[18:19], v[16:17], off
	global_store_b64 v[20:21], v[14:15], off
	s_and_not1_b32 exec_lo, exec_lo, s3
	s_cbranch_execnz .LBB0_73
	s_branch .LBB0_8
.LBB0_74:
	s_nop 0
	s_sendmsg sendmsg(MSG_DEALLOC_VGPRS)
	s_endpgm
	.section	.rodata,"a",@progbits
	.p2align	6, 0x0
	.amdhsa_kernel _ZN2at6native12_GLOBAL__N_121max_pool_forward_nhwcIdiEEvPKT_iT0_S6_S6_S6_S6_iiiiiiiiS6_S6_S6_S6_iiPS3_Pl
		.amdhsa_group_segment_fixed_size 0
		.amdhsa_private_segment_fixed_size 0
		.amdhsa_kernarg_size 360
		.amdhsa_user_sgpr_count 13
		.amdhsa_user_sgpr_dispatch_ptr 0
		.amdhsa_user_sgpr_queue_ptr 0
		.amdhsa_user_sgpr_kernarg_segment_ptr 1
		.amdhsa_user_sgpr_dispatch_id 0
		.amdhsa_user_sgpr_private_segment_size 0
		.amdhsa_wavefront_size32 1
		.amdhsa_uses_dynamic_stack 0
		.amdhsa_enable_private_segment 0
		.amdhsa_system_sgpr_workgroup_id_x 1
		.amdhsa_system_sgpr_workgroup_id_y 1
		.amdhsa_system_sgpr_workgroup_id_z 1
		.amdhsa_system_sgpr_workgroup_info 0
		.amdhsa_system_vgpr_workitem_id 2
		.amdhsa_next_free_vgpr 52
		.amdhsa_next_free_sgpr 50
		.amdhsa_reserve_vcc 1
		.amdhsa_float_round_mode_32 0
		.amdhsa_float_round_mode_16_64 0
		.amdhsa_float_denorm_mode_32 3
		.amdhsa_float_denorm_mode_16_64 3
		.amdhsa_dx10_clamp 1
		.amdhsa_ieee_mode 1
		.amdhsa_fp16_overflow 0
		.amdhsa_workgroup_processor_mode 1
		.amdhsa_memory_ordered 1
		.amdhsa_forward_progress 0
		.amdhsa_shared_vgpr_count 0
		.amdhsa_exception_fp_ieee_invalid_op 0
		.amdhsa_exception_fp_denorm_src 0
		.amdhsa_exception_fp_ieee_div_zero 0
		.amdhsa_exception_fp_ieee_overflow 0
		.amdhsa_exception_fp_ieee_underflow 0
		.amdhsa_exception_fp_ieee_inexact 0
		.amdhsa_exception_int_div_zero 0
	.end_amdhsa_kernel
	.section	.text._ZN2at6native12_GLOBAL__N_121max_pool_forward_nhwcIdiEEvPKT_iT0_S6_S6_S6_S6_iiiiiiiiS6_S6_S6_S6_iiPS3_Pl,"axG",@progbits,_ZN2at6native12_GLOBAL__N_121max_pool_forward_nhwcIdiEEvPKT_iT0_S6_S6_S6_S6_iiiiiiiiS6_S6_S6_S6_iiPS3_Pl,comdat
.Lfunc_end0:
	.size	_ZN2at6native12_GLOBAL__N_121max_pool_forward_nhwcIdiEEvPKT_iT0_S6_S6_S6_S6_iiiiiiiiS6_S6_S6_S6_iiPS3_Pl, .Lfunc_end0-_ZN2at6native12_GLOBAL__N_121max_pool_forward_nhwcIdiEEvPKT_iT0_S6_S6_S6_S6_iiiiiiiiS6_S6_S6_S6_iiPS3_Pl
                                        ; -- End function
	.section	.AMDGPU.csdata,"",@progbits
; Kernel info:
; codeLenInByte = 3556
; NumSgprs: 52
; NumVgprs: 52
; ScratchSize: 0
; MemoryBound: 0
; FloatMode: 240
; IeeeMode: 1
; LDSByteSize: 0 bytes/workgroup (compile time only)
; SGPRBlocks: 6
; VGPRBlocks: 6
; NumSGPRsForWavesPerEU: 52
; NumVGPRsForWavesPerEU: 52
; Occupancy: 16
; WaveLimiterHint : 1
; COMPUTE_PGM_RSRC2:SCRATCH_EN: 0
; COMPUTE_PGM_RSRC2:USER_SGPR: 13
; COMPUTE_PGM_RSRC2:TRAP_HANDLER: 0
; COMPUTE_PGM_RSRC2:TGID_X_EN: 1
; COMPUTE_PGM_RSRC2:TGID_Y_EN: 1
; COMPUTE_PGM_RSRC2:TGID_Z_EN: 1
; COMPUTE_PGM_RSRC2:TIDIG_COMP_CNT: 2
	.section	.text._ZN2at6native12_GLOBAL__N_121max_pool_forward_nhwcIdlEEvPKT_iT0_S6_S6_S6_S6_iiiiiiiiS6_S6_S6_S6_iiPS3_Pl,"axG",@progbits,_ZN2at6native12_GLOBAL__N_121max_pool_forward_nhwcIdlEEvPKT_iT0_S6_S6_S6_S6_iiiiiiiiS6_S6_S6_S6_iiPS3_Pl,comdat
	.globl	_ZN2at6native12_GLOBAL__N_121max_pool_forward_nhwcIdlEEvPKT_iT0_S6_S6_S6_S6_iiiiiiiiS6_S6_S6_S6_iiPS3_Pl ; -- Begin function _ZN2at6native12_GLOBAL__N_121max_pool_forward_nhwcIdlEEvPKT_iT0_S6_S6_S6_S6_iiiiiiiiS6_S6_S6_S6_iiPS3_Pl
	.p2align	8
	.type	_ZN2at6native12_GLOBAL__N_121max_pool_forward_nhwcIdlEEvPKT_iT0_S6_S6_S6_S6_iiiiiiiiS6_S6_S6_S6_iiPS3_Pl,@function
_ZN2at6native12_GLOBAL__N_121max_pool_forward_nhwcIdlEEvPKT_iT0_S6_S6_S6_S6_iiiiiiiiS6_S6_S6_S6_iiPS3_Pl: ; @_ZN2at6native12_GLOBAL__N_121max_pool_forward_nhwcIdlEEvPKT_iT0_S6_S6_S6_S6_iiiiiiiiS6_S6_S6_S6_iiPS3_Pl
; %bb.0:
	s_clause 0x1
	s_load_b128 s[4:7], s[0:1], 0x94
	s_load_b64 s[34:35], s[0:1], 0x78
	v_bfe_u32 v5, v0, 10, 10
	v_bfe_u32 v2, v0, 20, 10
	v_and_b32_e32 v6, 0x3ff, v0
	s_waitcnt lgkmcnt(0)
	s_lshr_b32 s33, s6, 16
	s_and_b32 s3, s6, 0xffff
	v_mad_u32_u24 v9, v2, s33, v5
	s_mul_i32 s2, s3, s35
	s_and_b32 s48, s7, 0xffff
	s_mul_i32 s6, s2, s33
	s_mov_b32 s7, exec_lo
	v_mad_u64_u32 v[0:1], null, v9, s3, v[6:7]
	s_mul_i32 s6, s6, s48
	s_delay_alu instid0(VALU_DEP_1) | instid1(SALU_CYCLE_1)
	v_cmpx_gt_u32_e64 s6, v0
	s_cbranch_execz .LBB1_3
; %bb.1:
	v_dual_mov_b32 v3, 0 :: v_dual_mov_b32 v4, 0xfff00000
	s_mul_i32 s8, s33, s3
	v_lshl_add_u32 v1, v0, 3, 0
	s_mul_i32 s8, s8, s48
	s_delay_alu instid0(VALU_DEP_2)
	v_mov_b32_e32 v7, v3
	v_mov_b32_e32 v8, v3
	s_lshl_b32 s9, s6, 3
	s_mov_b32 s10, 0
	s_lshl_b32 s11, s8, 3
.LBB1_2:                                ; =>This Inner Loop Header: Depth=1
	v_add_nc_u32_e32 v0, s8, v0
	v_add_nc_u32_e32 v10, s9, v1
	ds_store_b64 v1, v[7:8]
	v_add_nc_u32_e32 v1, s11, v1
	v_cmp_le_u32_e32 vcc_lo, s6, v0
	ds_store_b64 v10, v[3:4]
	s_or_b32 s10, vcc_lo, s10
	s_delay_alu instid0(SALU_CYCLE_1)
	s_and_not1_b32 exec_lo, exec_lo, s10
	s_cbranch_execnz .LBB1_2
.LBB1_3:
	s_or_b32 exec_lo, exec_lo, s7
	v_cvt_f32_u32_e32 v0, s5
	s_clause 0x1
	s_load_b32 s7, s[0:1], 0x8
	s_load_b256 s[16:23], s[0:1], 0x10
	s_sub_i32 s9, 0, s5
	s_waitcnt lgkmcnt(0)
	s_barrier
	v_rcp_iflag_f32_e32 v0, v0
	buffer_gl0_inv
	v_mul_f32_e32 v0, 0x4f7ffffe, v0
	s_delay_alu instid0(VALU_DEP_1) | instskip(SKIP_1) | instid1(SALU_CYCLE_1)
	v_cvt_u32_f32_e32 v0, v0
	s_add_i32 s10, s22, s5
	s_add_i32 s10, s10, -1
	s_delay_alu instid0(VALU_DEP_1) | instskip(SKIP_1) | instid1(VALU_DEP_2)
	v_readfirstlane_b32 s8, v0
	v_cvt_f32_u32_e32 v0, s7
	s_mul_i32 s9, s9, s8
	s_delay_alu instid0(VALU_DEP_1) | instskip(SKIP_3) | instid1(SALU_CYCLE_1)
	v_rcp_iflag_f32_e32 v3, v0
	s_mul_hi_u32 s9, s8, s9
	v_cvt_f32_u32_e32 v0, s4
	s_add_i32 s8, s8, s9
	s_mul_hi_u32 s8, s10, s8
	s_delay_alu instid0(VALU_DEP_1) | instskip(SKIP_1) | instid1(SALU_CYCLE_1)
	v_rcp_iflag_f32_e32 v4, v0
	s_mul_i32 s9, s8, s5
	s_sub_i32 s9, s10, s9
	s_add_i32 s10, s8, 1
	s_sub_i32 s11, s9, s5
	s_cmp_ge_u32 s9, s5
	s_cselect_b32 s8, s10, s8
	s_cselect_b32 s9, s11, s9
	s_add_i32 s10, s8, 1
	s_cmp_ge_u32 s9, s5
	s_mov_b32 s9, 0
	s_cselect_b32 s5, s10, s8
	s_mov_b32 s10, exec_lo
	s_waitcnt_depctr 0xfff
	v_mad_u64_u32 v[0:1], null, s5, s15, v[2:3]
	v_dual_mul_f32 v1, 0x4f7ffffe, v3 :: v_dual_mul_f32 v2, 0x4f7ffffe, v4
	s_delay_alu instid0(VALU_DEP_1) | instskip(NEXT) | instid1(VALU_DEP_3)
	v_cvt_u32_f32_e32 v1, v1
	v_add_nc_u32_e32 v3, s5, v0
	s_delay_alu instid0(VALU_DEP_3) | instskip(NEXT) | instid1(VALU_DEP_3)
	v_cvt_u32_f32_e32 v2, v2
	v_readfirstlane_b32 s8, v1
	s_delay_alu instid0(VALU_DEP_3) | instskip(NEXT) | instid1(VALU_DEP_3)
	v_min_i32_e32 v52, s22, v3
	v_readfirstlane_b32 s5, v2
	s_delay_alu instid0(VALU_DEP_2)
	v_cmpx_lt_i32_e64 v0, v52
	s_cbranch_execz .LBB1_78
; %bb.4:
	s_clause 0x1
	s_load_b64 s[10:11], s[0:1], 0x30
	s_load_b64 s[50:51], s[0:1], 0x0
	s_sub_i32 s12, 0, s7
	s_sub_i32 s15, 0, s4
	s_mul_i32 s12, s12, s8
	s_mul_i32 s15, s15, s5
	s_mul_hi_u32 s12, s8, s12
	s_load_b256 s[24:31], s[0:1], 0x58
	s_add_i32 s8, s8, s12
	s_mul_hi_u32 s12, s5, s15
	s_mul_hi_u32 s8, s13, s8
	s_add_i32 s12, s5, s12
	s_mul_i32 s5, s8, s7
	s_lshl_b32 s6, s6, 3
	s_sub_i32 s5, s13, s5
	s_add_i32 s6, s6, 0
	s_add_i32 s15, s8, 1
	s_sub_i32 s37, s5, s7
	v_mul_lo_u32 v1, s2, v9
	s_load_b128 s[44:47], s[0:1], 0x80
	s_waitcnt lgkmcnt(0)
	s_add_i32 s36, s10, s4
	s_delay_alu instid0(SALU_CYCLE_1)
	s_add_i32 s52, s36, -1
	s_cmp_ge_u32 s5, s7
	s_cselect_b32 s2, s15, s8
	s_cselect_b32 s5, s37, s5
	s_add_i32 s8, s2, 1
	s_cmp_ge_u32 s5, s7
	s_load_b256 s[36:43], s[0:1], 0x38
	s_cselect_b32 s2, s8, s2
	v_lshlrev_b32_e32 v10, 3, v1
	s_mul_i32 s5, s2, s7
	v_mad_u64_u32 v[1:2], null, s2, s3, v[6:7]
	s_sub_i32 s5, s13, s5
	s_mul_hi_i32 s15, s3, s34
	s_mul_i32 s0, s5, s25
	s_mul_hi_u32 s1, s5, s24
	s_ashr_i32 s7, s5, 31
	s_add_i32 s1, s1, s0
	s_mul_i32 s8, s7, s24
	s_mul_i32 s0, s5, s24
	s_add_i32 s1, s1, s8
	s_mul_hi_u32 s8, s52, s12
	s_lshl_b64 s[0:1], s[0:1], 3
	s_mul_i32 s12, s8, s4
	s_add_u32 s49, s50, s0
	s_addc_u32 s50, s51, s1
	s_sub_i32 s0, s52, s12
	s_add_i32 s1, s8, 1
	s_sub_i32 s12, s0, s4
	s_cmp_ge_u32 s0, s4
	v_ashrrev_i32_e32 v2, 31, v1
	s_cselect_b32 s1, s1, s8
	s_cselect_b32 s0, s12, s0
	s_add_i32 s2, s1, 1
	s_cmp_ge_u32 s0, s4
	v_mul_lo_u32 v7, v1, s27
	s_cselect_b32 s0, s2, s1
	v_mul_lo_u32 v8, v2, s26
	v_mad_u64_u32 v[3:4], null, s0, s14, v[5:6]
	v_mad_u64_u32 v[4:5], null, v1, s26, 0
	s_waitcnt lgkmcnt(0)
	s_add_i32 s1, s37, -1
	s_mul_i32 s8, s3, s34
	s_mul_i32 s1, s1, s43
	s_ashr_i32 s13, s42, 31
	s_delay_alu instid0(VALU_DEP_2)
	v_add_nc_u32_e32 v11, s0, v3
	s_add_i32 s0, s36, -1
	s_add_i32 s54, s1, 1
	s_mul_i32 s0, s0, s42
	s_mov_b32 s12, s42
	s_add_i32 s53, s0, 1
	v_add3_u32 v5, v5, v7, v8
	s_max_i32 s1, s36, s37
	v_cmp_ge_i64_e64 s2, s[8:9], s[16:17]
	s_mov_b32 s51, s40
	s_ashr_i32 s40, s40, 31
	s_ashr_i32 s52, s41, 31
	;; [unrolled: 1-line block ×5, first 2 shown]
	v_cmp_gt_u64_e64 s4, s[12:13], 1
	s_cmp_lt_i32 s1, 4
	v_lshlrev_b64 v[7:8], 3, v[4:5]
	s_cselect_b32 s1, -1, 0
	v_lshlrev_b32_e32 v6, 3, v6
	s_and_b32 s58, s1, s2
	s_ashr_i32 s24, s34, 31
	s_and_b32 s4, s4, exec_lo
	s_cselect_b32 s59, s13, 0
	s_cselect_b32 s60, s42, 1
	v_add_co_u32 v54, vcc_lo, s49, v7
	v_add3_u32 v56, s6, v10, v6
	v_cvt_f32_u32_e32 v7, s59
	v_add_nc_u32_e32 v57, 0, v6
	v_cvt_f32_u32_e32 v6, s60
	v_add_co_ci_u32_e32 v55, vcc_lo, s50, v8, vcc_lo
	v_lshlrev_b32_e32 v8, 3, v9
	s_mov_b32 s14, s8
	s_delay_alu instid0(VALU_DEP_3)
	v_fmac_f32_e32 v6, 0x4f800000, v7
	v_mul_lo_u32 v7, s35, v9
	s_add_u32 s4, s41, s43
	s_mul_i32 s8, s33, s48
	s_addc_u32 s6, s52, s36
	v_rcp_f32_e32 v6, v6
	s_mov_b32 s56, s41
	s_sub_u32 s41, 0, s4
	s_subb_u32 s61, 0, s6
	s_mul_hi_u32 s4, s26, s34
	s_mul_i32 s6, s26, s24
	v_mul_lo_u32 v7, v7, s3
	s_add_i32 s4, s4, s6
	s_mul_i32 s6, s27, s34
	v_cmp_le_i64_e64 s1, s[16:17], v[1:2]
	s_waitcnt_depctr 0xfff
	v_mul_f32_e32 v9, 0x5f7ffffc, v6
	v_add_nc_u32_e32 v58, v57, v10
	s_add_i32 s4, s4, s6
	s_mul_i32 s6, s26, s34
	s_mul_i32 s4, s4, s3
	v_mul_f32_e32 v6, 0x2f800000, v9
	s_mul_i32 s27, s6, s3
	v_min_i32_e32 v53, s10, v11
	v_cmp_gt_i64_e64 s2, s[16:17], v[1:2]
	v_lshlrev_b32_e32 v60, 3, v7
	v_trunc_f32_e32 v10, v6
	v_lshlrev_b64 v[6:7], 3, v[1:2]
	v_cmp_lt_i32_e64 s0, v3, v53
	s_mov_b32 s37, s43
	s_lshl_b32 s34, s3, 3
	v_fmac_f32_e32 v9, 0xcf800000, v10
	v_lshl_add_u32 v8, s8, 3, v8
	s_mul_hi_u32 s8, s6, s3
	s_mul_hi_u32 s6, s10, s22
	s_add_i32 s26, s8, s4
	s_mul_i32 s4, s10, s23
	v_mul_lo_u32 v8, s35, v8
	s_add_i32 s4, s6, s4
	s_mul_i32 s6, s10, s22
	s_mul_i32 s8, s11, s22
	;; [unrolled: 1-line block ×3, first 2 shown]
	s_mul_hi_u32 s22, s6, s5
	s_add_i32 s4, s4, s8
	s_add_i32 s7, s22, s7
	v_mul_lo_u32 v59, v8, s3
	s_mul_i32 s4, s4, s5
	v_mov_b32_e32 v8, 0
	v_cvt_u32_f32_e32 v61, v9
	v_cvt_u32_f32_e32 v62, v10
	v_mov_b32_e32 v9, 0xfff00000
	s_add_i32 s7, s7, s4
	s_mul_i32 s6, s6, s5
	s_lshl_b64 s[24:25], s[14:15], 3
	s_lshl_b64 s[22:23], s[6:7], 3
	s_branch .LBB1_6
.LBB1_5:                                ;   in Loop: Header=BB1_6 Depth=1
	s_or_b32 exec_lo, exec_lo, s35
	v_add_nc_u32_e32 v0, s48, v0
	s_delay_alu instid0(VALU_DEP_1) | instskip(SKIP_1) | instid1(SALU_CYCLE_1)
	v_cmp_ge_i32_e32 vcc_lo, v0, v52
	s_or_b32 s9, vcc_lo, s9
	s_and_not1_b32 exec_lo, exec_lo, s9
	s_cbranch_execz .LBB1_78
.LBB1_6:                                ; =>This Loop Header: Depth=1
                                        ;     Child Loop BB1_9 Depth 2
                                        ;       Child Loop BB1_14 Depth 3
                                        ;       Child Loop BB1_67 Depth 3
                                        ;         Child Loop BB1_70 Depth 4
                                        ;           Child Loop BB1_73 Depth 5
                                        ;       Child Loop BB1_77 Depth 3
	s_and_saveexec_b32 s35, s0
	s_cbranch_execz .LBB1_5
; %bb.7:                                ;   in Loop: Header=BB1_6 Depth=1
	v_mad_i64_i32 v[10:11], null, v0, s38, 0
	v_ashrrev_i32_e32 v16, 31, v0
	v_mul_lo_u32 v17, s11, v0
	s_mov_b32 s62, 0
	v_mov_b32_e32 v63, v3
	s_delay_alu instid0(VALU_DEP_3) | instskip(SKIP_3) | instid1(VALU_DEP_3)
	v_mul_lo_u32 v16, s10, v16
	v_sub_co_u32 v12, vcc_lo, v10, s51
	v_subrev_co_ci_u32_e32 v13, vcc_lo, s40, v11, vcc_lo
	v_mad_u64_u32 v[10:11], null, s10, v0, 0
	v_add_co_u32 v14, vcc_lo, v12, s53
	s_delay_alu instid0(VALU_DEP_3) | instskip(NEXT) | instid1(VALU_DEP_3)
	v_add_co_ci_u32_e32 v15, vcc_lo, s55, v13, vcc_lo
	v_add3_u32 v11, v11, v16, v17
	s_delay_alu instid0(VALU_DEP_2)
	v_cmp_gt_i64_e32 vcc_lo, s[18:19], v[14:15]
	v_cndmask_b32_e32 v15, s19, v15, vcc_lo
	v_cndmask_b32_e32 v14, s18, v14, vcc_lo
	s_branch .LBB1_9
.LBB1_8:                                ;   in Loop: Header=BB1_9 Depth=2
	s_set_inst_prefetch_distance 0x2
	s_or_b32 exec_lo, exec_lo, s4
	v_add_nc_u32_e32 v63, s33, v63
	s_delay_alu instid0(VALU_DEP_1) | instskip(SKIP_1) | instid1(SALU_CYCLE_1)
	v_cmp_ge_i32_e32 vcc_lo, v63, v53
	s_or_b32 s62, vcc_lo, s62
	s_and_not1_b32 exec_lo, exec_lo, s62
	s_cbranch_execz .LBB1_5
.LBB1_9:                                ;   Parent Loop BB1_6 Depth=1
                                        ; =>  This Loop Header: Depth=2
                                        ;       Child Loop BB1_14 Depth 3
                                        ;       Child Loop BB1_67 Depth 3
                                        ;         Child Loop BB1_70 Depth 4
                                        ;           Child Loop BB1_73 Depth 5
                                        ;       Child Loop BB1_77 Depth 3
	v_cmp_lt_i64_e32 vcc_lo, 0, v[12:13]
	v_lshrrev_b32_e32 v22, 31, v13
	v_dual_cndmask_b32 v17, 0, v13 :: v_dual_cndmask_b32 v16, 0, v12
	s_delay_alu instid0(VALU_DEP_2) | instskip(SKIP_1) | instid1(VALU_DEP_2)
	v_add_co_u32 v18, vcc_lo, v12, v22
	v_add_co_ci_u32_e32 v19, vcc_lo, 0, v13, vcc_lo
	v_sub_co_u32 v16, vcc_lo, v16, v18
	s_delay_alu instid0(VALU_DEP_2) | instskip(SKIP_1) | instid1(VALU_DEP_2)
	v_sub_co_ci_u32_e32 v17, vcc_lo, v17, v19, vcc_lo
	v_mov_b32_e32 v18, v8
	v_or_b32_e32 v19, s59, v17
	s_delay_alu instid0(VALU_DEP_1) | instskip(SKIP_1) | instid1(SALU_CYCLE_1)
	v_cmp_ne_u64_e32 vcc_lo, 0, v[18:19]
                                        ; implicit-def: $vgpr18_vgpr19
	s_and_saveexec_b32 s3, vcc_lo
	s_xor_b32 s4, exec_lo, s3
	s_cbranch_execz .LBB1_11
; %bb.10:                               ;   in Loop: Header=BB1_9 Depth=2
	s_sub_u32 s3, 0, s60
	s_subb_u32 s5, 0, s59
	v_mul_hi_u32 v18, s3, v61
	v_mul_lo_u32 v19, s3, v62
	v_mul_lo_u32 v20, s5, v61
	s_delay_alu instid0(VALU_DEP_2) | instskip(SKIP_1) | instid1(VALU_DEP_2)
	v_add_nc_u32_e32 v18, v18, v19
	v_mul_lo_u32 v19, s3, v61
	v_add_nc_u32_e32 v18, v18, v20
	s_delay_alu instid0(VALU_DEP_2) | instskip(NEXT) | instid1(VALU_DEP_2)
	v_mul_hi_u32 v20, v61, v19
	v_mul_lo_u32 v21, v61, v18
	v_mul_hi_u32 v23, v61, v18
	v_mul_hi_u32 v24, v62, v19
	v_mul_lo_u32 v19, v62, v19
	v_mul_hi_u32 v25, v62, v18
	v_mul_lo_u32 v18, v62, v18
	v_add_co_u32 v20, vcc_lo, v20, v21
	v_add_co_ci_u32_e32 v21, vcc_lo, 0, v23, vcc_lo
	s_delay_alu instid0(VALU_DEP_2) | instskip(NEXT) | instid1(VALU_DEP_2)
	v_add_co_u32 v19, vcc_lo, v20, v19
	v_add_co_ci_u32_e32 v19, vcc_lo, v21, v24, vcc_lo
	v_add_co_ci_u32_e32 v20, vcc_lo, 0, v25, vcc_lo
	s_delay_alu instid0(VALU_DEP_2) | instskip(NEXT) | instid1(VALU_DEP_2)
	v_add_co_u32 v18, vcc_lo, v19, v18
	v_add_co_ci_u32_e32 v19, vcc_lo, 0, v20, vcc_lo
	s_delay_alu instid0(VALU_DEP_2) | instskip(NEXT) | instid1(VALU_DEP_2)
	v_add_co_u32 v18, vcc_lo, v61, v18
	v_add_co_ci_u32_e32 v19, vcc_lo, v62, v19, vcc_lo
	s_delay_alu instid0(VALU_DEP_2) | instskip(SKIP_1) | instid1(VALU_DEP_3)
	v_mul_hi_u32 v20, s3, v18
	v_mul_lo_u32 v23, s5, v18
	v_mul_lo_u32 v21, s3, v19
	s_delay_alu instid0(VALU_DEP_1) | instskip(SKIP_1) | instid1(VALU_DEP_2)
	v_add_nc_u32_e32 v20, v20, v21
	v_mul_lo_u32 v21, s3, v18
	v_add_nc_u32_e32 v20, v20, v23
	s_delay_alu instid0(VALU_DEP_2) | instskip(NEXT) | instid1(VALU_DEP_2)
	v_mul_hi_u32 v23, v18, v21
	v_mul_lo_u32 v24, v18, v20
	v_mul_hi_u32 v25, v18, v20
	v_mul_hi_u32 v26, v19, v21
	v_mul_lo_u32 v21, v19, v21
	v_mul_hi_u32 v27, v19, v20
	v_mul_lo_u32 v20, v19, v20
	v_add_co_u32 v23, vcc_lo, v23, v24
	v_add_co_ci_u32_e32 v24, vcc_lo, 0, v25, vcc_lo
	s_delay_alu instid0(VALU_DEP_2) | instskip(NEXT) | instid1(VALU_DEP_2)
	v_add_co_u32 v21, vcc_lo, v23, v21
	v_add_co_ci_u32_e32 v21, vcc_lo, v24, v26, vcc_lo
	v_add_co_ci_u32_e32 v23, vcc_lo, 0, v27, vcc_lo
	s_delay_alu instid0(VALU_DEP_2) | instskip(NEXT) | instid1(VALU_DEP_2)
	v_add_co_u32 v20, vcc_lo, v21, v20
	v_add_co_ci_u32_e32 v21, vcc_lo, 0, v23, vcc_lo
	s_delay_alu instid0(VALU_DEP_2) | instskip(NEXT) | instid1(VALU_DEP_2)
	v_add_co_u32 v23, vcc_lo, v18, v20
	v_add_co_ci_u32_e32 v25, vcc_lo, v19, v21, vcc_lo
	s_delay_alu instid0(VALU_DEP_2) | instskip(SKIP_1) | instid1(VALU_DEP_3)
	v_mul_hi_u32 v26, v16, v23
	v_mad_u64_u32 v[20:21], null, v17, v23, 0
	v_mad_u64_u32 v[18:19], null, v16, v25, 0
	;; [unrolled: 1-line block ×3, first 2 shown]
	s_delay_alu instid0(VALU_DEP_2) | instskip(NEXT) | instid1(VALU_DEP_3)
	v_add_co_u32 v18, vcc_lo, v26, v18
	v_add_co_ci_u32_e32 v19, vcc_lo, 0, v19, vcc_lo
	s_delay_alu instid0(VALU_DEP_2) | instskip(NEXT) | instid1(VALU_DEP_2)
	v_add_co_u32 v18, vcc_lo, v18, v20
	v_add_co_ci_u32_e32 v18, vcc_lo, v19, v21, vcc_lo
	v_add_co_ci_u32_e32 v19, vcc_lo, 0, v24, vcc_lo
	s_delay_alu instid0(VALU_DEP_2) | instskip(NEXT) | instid1(VALU_DEP_2)
	v_add_co_u32 v20, vcc_lo, v18, v23
	v_add_co_ci_u32_e32 v21, vcc_lo, 0, v19, vcc_lo
	s_delay_alu instid0(VALU_DEP_2) | instskip(SKIP_1) | instid1(VALU_DEP_3)
	v_mul_lo_u32 v23, s59, v20
	v_mad_u64_u32 v[18:19], null, s60, v20, 0
	v_mul_lo_u32 v24, s60, v21
	s_delay_alu instid0(VALU_DEP_2) | instskip(NEXT) | instid1(VALU_DEP_2)
	v_sub_co_u32 v16, vcc_lo, v16, v18
	v_add3_u32 v19, v19, v24, v23
	s_delay_alu instid0(VALU_DEP_1) | instskip(NEXT) | instid1(VALU_DEP_1)
	v_sub_nc_u32_e32 v23, v17, v19
	v_subrev_co_ci_u32_e64 v18, s3, s59, v23, vcc_lo
	v_add_co_u32 v23, s3, v20, 2
	s_delay_alu instid0(VALU_DEP_1) | instskip(SKIP_3) | instid1(VALU_DEP_3)
	v_add_co_ci_u32_e64 v24, s3, 0, v21, s3
	v_sub_co_u32 v25, s3, v16, s60
	v_sub_co_ci_u32_e32 v17, vcc_lo, v17, v19, vcc_lo
	v_subrev_co_ci_u32_e64 v18, s3, 0, v18, s3
	v_cmp_le_u32_e32 vcc_lo, s60, v25
	s_delay_alu instid0(VALU_DEP_3) | instskip(SKIP_1) | instid1(VALU_DEP_4)
	v_cmp_eq_u32_e64 s3, s59, v17
	v_cndmask_b32_e64 v19, 0, -1, vcc_lo
	v_cmp_le_u32_e32 vcc_lo, s59, v18
	v_cndmask_b32_e64 v25, 0, -1, vcc_lo
	v_cmp_le_u32_e32 vcc_lo, s60, v16
	;; [unrolled: 2-line block ×3, first 2 shown]
	v_cndmask_b32_e64 v26, 0, -1, vcc_lo
	v_cmp_eq_u32_e32 vcc_lo, s59, v18
	s_delay_alu instid0(VALU_DEP_2) | instskip(SKIP_3) | instid1(VALU_DEP_3)
	v_cndmask_b32_e64 v16, v26, v16, s3
	v_cndmask_b32_e32 v18, v25, v19, vcc_lo
	v_add_co_u32 v19, vcc_lo, v20, 1
	v_add_co_ci_u32_e32 v25, vcc_lo, 0, v21, vcc_lo
	v_cmp_ne_u32_e32 vcc_lo, 0, v18
	s_delay_alu instid0(VALU_DEP_2) | instskip(SKIP_1) | instid1(VALU_DEP_2)
	v_dual_cndmask_b32 v17, v25, v24 :: v_dual_cndmask_b32 v18, v19, v23
	v_cmp_ne_u32_e32 vcc_lo, 0, v16
                                        ; implicit-def: $vgpr16
	v_dual_cndmask_b32 v19, v21, v17 :: v_dual_cndmask_b32 v18, v20, v18
.LBB1_11:                               ;   in Loop: Header=BB1_9 Depth=2
	s_and_not1_saveexec_b32 s3, s4
	s_cbranch_execz .LBB1_13
; %bb.12:                               ;   in Loop: Header=BB1_9 Depth=2
	v_cvt_f32_u32_e32 v17, s60
	s_sub_i32 s4, 0, s60
	s_delay_alu instid0(VALU_DEP_1) | instskip(SKIP_2) | instid1(VALU_DEP_1)
	v_rcp_iflag_f32_e32 v17, v17
	s_waitcnt_depctr 0xfff
	v_mul_f32_e32 v17, 0x4f7ffffe, v17
	v_cvt_u32_f32_e32 v17, v17
	s_delay_alu instid0(VALU_DEP_1) | instskip(NEXT) | instid1(VALU_DEP_1)
	v_mul_lo_u32 v18, s4, v17
	v_mul_hi_u32 v18, v17, v18
	s_delay_alu instid0(VALU_DEP_1) | instskip(NEXT) | instid1(VALU_DEP_1)
	v_add_nc_u32_e32 v17, v17, v18
	v_mul_hi_u32 v17, v16, v17
	s_delay_alu instid0(VALU_DEP_1) | instskip(NEXT) | instid1(VALU_DEP_1)
	v_mul_lo_u32 v18, v17, s60
	v_sub_nc_u32_e32 v16, v16, v18
	v_add_nc_u32_e32 v18, 1, v17
	s_delay_alu instid0(VALU_DEP_2) | instskip(SKIP_1) | instid1(VALU_DEP_2)
	v_subrev_nc_u32_e32 v19, s60, v16
	v_cmp_le_u32_e32 vcc_lo, s60, v16
	v_cndmask_b32_e32 v16, v16, v19, vcc_lo
	v_mov_b32_e32 v19, v8
	v_cndmask_b32_e32 v17, v17, v18, vcc_lo
	s_delay_alu instid0(VALU_DEP_3) | instskip(NEXT) | instid1(VALU_DEP_2)
	v_cmp_le_u32_e32 vcc_lo, s60, v16
	v_add_nc_u32_e32 v18, 1, v17
	s_delay_alu instid0(VALU_DEP_1)
	v_cndmask_b32_e32 v18, v17, v18, vcc_lo
.LBB1_13:                               ;   in Loop: Header=BB1_9 Depth=2
	s_or_b32 exec_lo, exec_lo, s3
	v_mad_i64_i32 v[20:21], null, s39, v63, 0
	v_ashrrev_i32_e32 v64, 31, v63
	s_mov_b32 s3, 0
	s_delay_alu instid0(VALU_DEP_2) | instskip(NEXT) | instid1(VALU_DEP_3)
	v_add_co_u32 v16, vcc_lo, s41, v20
	v_add_co_ci_u32_e32 v17, vcc_lo, s61, v21, vcc_lo
.LBB1_14:                               ;   Parent Loop BB1_6 Depth=1
                                        ;     Parent Loop BB1_9 Depth=2
                                        ; =>    This Inner Loop Header: Depth=3
	s_delay_alu instid0(VALU_DEP_2) | instskip(NEXT) | instid1(VALU_DEP_2)
	v_add_co_u32 v16, vcc_lo, v16, s37
	v_add_co_ci_u32_e32 v17, vcc_lo, s36, v17, vcc_lo
	s_delay_alu instid0(VALU_DEP_1) | instskip(SKIP_1) | instid1(SALU_CYCLE_1)
	v_cmp_lt_i64_e32 vcc_lo, -1, v[16:17]
	s_or_b32 s3, vcc_lo, s3
	s_and_not1_b32 exec_lo, exec_lo, s3
	s_cbranch_execnz .LBB1_14
; %bb.15:                               ;   in Loop: Header=BB1_9 Depth=2
	s_or_b32 exec_lo, exec_lo, s3
	v_sub_co_u32 v20, vcc_lo, v20, s56
	v_subrev_co_ci_u32_e32 v21, vcc_lo, s52, v21, vcc_lo
	v_add_co_u32 v22, vcc_lo, v22, v18
	v_add_co_ci_u32_e32 v23, vcc_lo, 0, v19, vcc_lo
	s_delay_alu instid0(VALU_DEP_4) | instskip(NEXT) | instid1(VALU_DEP_4)
	v_add_co_u32 v18, vcc_lo, v20, s54
	v_add_co_ci_u32_e32 v19, vcc_lo, s57, v21, vcc_lo
	s_delay_alu instid0(VALU_DEP_4) | instskip(NEXT) | instid1(VALU_DEP_4)
	v_mul_lo_u32 v24, v22, s13
	v_mul_lo_u32 v23, v23, s12
	v_mad_u64_u32 v[20:21], null, v22, s12, v[12:13]
	s_delay_alu instid0(VALU_DEP_4) | instskip(SKIP_1) | instid1(VALU_DEP_2)
	v_cmp_gt_i64_e32 vcc_lo, s[20:21], v[18:19]
	s_mov_b32 s3, -1
	v_add3_u32 v13, v23, v21, v24
	s_delay_alu instid0(VALU_DEP_3)
	v_dual_cndmask_b32 v19, s21, v19 :: v_dual_mov_b32 v12, v20
	v_cndmask_b32_e32 v18, s20, v18, vcc_lo
	s_and_b32 vcc_lo, exec_lo, s58
	s_cbranch_vccnz .LBB1_18
; %bb.16:                               ;   in Loop: Header=BB1_9 Depth=2
	s_and_b32 vcc_lo, exec_lo, s3
	s_cbranch_vccnz .LBB1_64
.LBB1_17:                               ;   in Loop: Header=BB1_9 Depth=2
	s_and_saveexec_b32 s4, s2
	s_cbranch_execz .LBB1_8
	s_branch .LBB1_76
.LBB1_18:                               ;   in Loop: Header=BB1_9 Depth=2
	s_delay_alu instid0(VALU_DEP_2) | instskip(SKIP_3) | instid1(VALU_DEP_4)
	v_ashrrev_i32_e32 v31, 31, v12
	v_mul_lo_u32 v24, v12, s29
	v_mad_u64_u32 v[22:23], null, v12, s28, 0
	v_mov_b32_e32 v26, 0
	v_mul_lo_u32 v25, v31, s28
	v_dual_mov_b32 v30, v12 :: v_dual_mov_b32 v27, 0
	v_ashrrev_i32_e32 v21, 31, v16
	v_mov_b32_e32 v20, v16
	s_delay_alu instid0(VALU_DEP_3) | instskip(NEXT) | instid1(VALU_DEP_4)
	v_cmp_le_i64_e32 vcc_lo, v[14:15], v[30:31]
	v_mov_b32_e32 v33, v27
	v_add3_u32 v23, v23, v24, v25
	s_delay_alu instid0(VALU_DEP_4)
	v_cmp_le_i64_e64 s5, v[18:19], v[20:21]
	v_mul_lo_u32 v46, v21, s30
	v_mul_lo_u32 v47, v20, s31
	v_mov_b32_e32 v32, v26
	v_lshlrev_b64 v[22:23], 3, v[22:23]
	s_or_b32 s4, vcc_lo, s5
	s_delay_alu instid0(VALU_DEP_1) | instskip(NEXT) | instid1(VALU_DEP_1)
	v_add_co_u32 v34, s3, v54, v22
	v_add_co_ci_u32_e64 v35, s3, v55, v23, s3
	s_or_b32 s3, s4, s1
	s_delay_alu instid0(SALU_CYCLE_1) | instskip(NEXT) | instid1(SALU_CYCLE_1)
	s_xor_b32 s3, s3, -1
	s_and_saveexec_b32 s4, s3
	s_cbranch_execz .LBB1_20
; %bb.19:                               ;   in Loop: Header=BB1_9 Depth=2
	v_mad_u64_u32 v[22:23], null, v20, s30, 0
	s_delay_alu instid0(VALU_DEP_1) | instskip(NEXT) | instid1(VALU_DEP_1)
	v_add3_u32 v23, v23, v47, v46
	v_lshlrev_b64 v[22:23], 3, v[22:23]
	s_delay_alu instid0(VALU_DEP_1) | instskip(NEXT) | instid1(VALU_DEP_1)
	v_add_co_u32 v22, s3, v34, v22
	v_add_co_ci_u32_e64 v23, s3, v35, v23, s3
	global_load_b64 v[32:33], v[22:23], off
.LBB1_20:                               ;   in Loop: Header=BB1_9 Depth=2
	s_or_b32 exec_lo, exec_lo, s4
	v_add_nc_u32_e32 v22, s43, v16
	s_delay_alu instid0(VALU_DEP_1) | instskip(SKIP_1) | instid1(VALU_DEP_2)
	v_ashrrev_i32_e32 v23, 31, v22
	v_mul_lo_u32 v51, v22, s31
	v_cmp_le_i64_e64 s6, v[18:19], v[22:23]
	v_mul_lo_u32 v50, v23, s30
	s_delay_alu instid0(VALU_DEP_2) | instskip(NEXT) | instid1(SALU_CYCLE_1)
	s_or_b32 s3, vcc_lo, s6
	s_or_b32 s3, s3, s1
	s_delay_alu instid0(SALU_CYCLE_1) | instskip(NEXT) | instid1(SALU_CYCLE_1)
	s_xor_b32 s3, s3, -1
	s_and_saveexec_b32 s4, s3
	s_cbranch_execz .LBB1_22
; %bb.21:                               ;   in Loop: Header=BB1_9 Depth=2
	v_mad_u64_u32 v[24:25], null, v22, s30, 0
	s_delay_alu instid0(VALU_DEP_1) | instskip(NEXT) | instid1(VALU_DEP_1)
	v_add3_u32 v25, v25, v51, v50
	v_lshlrev_b64 v[24:25], 3, v[24:25]
	s_delay_alu instid0(VALU_DEP_1) | instskip(NEXT) | instid1(VALU_DEP_1)
	v_add_co_u32 v24, s3, v34, v24
	v_add_co_ci_u32_e64 v25, s3, v35, v25, s3
	global_load_b64 v[26:27], v[24:25], off
.LBB1_22:                               ;   in Loop: Header=BB1_9 Depth=2
	s_or_b32 exec_lo, exec_lo, s4
	v_add_nc_u32_e32 v24, s43, v22
	v_mov_b32_e32 v28, 0
	v_mov_b32_e32 v29, 0
	s_delay_alu instid0(VALU_DEP_3) | instskip(SKIP_1) | instid1(VALU_DEP_3)
	v_ashrrev_i32_e32 v25, 31, v24
	v_mul_lo_u32 v66, v24, s31
	v_dual_mov_b32 v39, v29 :: v_dual_mov_b32 v38, v28
	s_delay_alu instid0(VALU_DEP_3) | instskip(SKIP_1) | instid1(VALU_DEP_2)
	v_cmp_le_i64_e64 s7, v[18:19], v[24:25]
	v_mul_lo_u32 v65, v25, s30
	s_or_b32 s3, vcc_lo, s7
	s_delay_alu instid0(SALU_CYCLE_1) | instskip(NEXT) | instid1(SALU_CYCLE_1)
	s_or_b32 s3, s3, s1
	s_xor_b32 s3, s3, -1
	s_delay_alu instid0(SALU_CYCLE_1)
	s_and_saveexec_b32 s4, s3
	s_cbranch_execz .LBB1_24
; %bb.23:                               ;   in Loop: Header=BB1_9 Depth=2
	v_mad_u64_u32 v[36:37], null, v24, s30, 0
	s_delay_alu instid0(VALU_DEP_1) | instskip(NEXT) | instid1(VALU_DEP_1)
	v_add3_u32 v37, v37, v66, v65
	v_lshlrev_b64 v[36:37], 3, v[36:37]
	s_delay_alu instid0(VALU_DEP_1) | instskip(NEXT) | instid1(VALU_DEP_1)
	v_add_co_u32 v34, s3, v34, v36
	v_add_co_ci_u32_e64 v35, s3, v35, v37, s3
	global_load_b64 v[38:39], v[34:35], off
.LBB1_24:                               ;   in Loop: Header=BB1_9 Depth=2
	s_or_b32 exec_lo, exec_lo, s4
	v_add_nc_u32_e32 v40, s42, v12
	s_delay_alu instid0(VALU_DEP_1) | instskip(SKIP_2) | instid1(VALU_DEP_3)
	v_ashrrev_i32_e32 v41, 31, v40
	v_mul_lo_u32 v36, v40, s29
	v_mad_u64_u32 v[34:35], null, v40, s28, 0
	v_mul_lo_u32 v37, v41, s28
	v_cmp_le_i64_e64 s3, v[14:15], v[40:41]
	s_delay_alu instid0(VALU_DEP_1) | instskip(NEXT) | instid1(VALU_DEP_2)
	s_or_b32 s8, s3, s5
	v_add3_u32 v35, v35, v36, v37
	s_delay_alu instid0(VALU_DEP_1) | instskip(NEXT) | instid1(VALU_DEP_1)
	v_lshlrev_b64 v[34:35], 3, v[34:35]
	v_add_co_u32 v36, s4, v54, v34
	s_delay_alu instid0(VALU_DEP_1) | instskip(SKIP_1) | instid1(SALU_CYCLE_1)
	v_add_co_ci_u32_e64 v37, s4, v55, v35, s4
	s_or_b32 s4, s8, s1
	s_xor_b32 s4, s4, -1
	s_delay_alu instid0(SALU_CYCLE_1)
	s_and_saveexec_b32 s8, s4
	s_cbranch_execz .LBB1_26
; %bb.25:                               ;   in Loop: Header=BB1_9 Depth=2
	v_mad_u64_u32 v[28:29], null, v20, s30, 0
	s_delay_alu instid0(VALU_DEP_1) | instskip(NEXT) | instid1(VALU_DEP_1)
	v_add3_u32 v29, v29, v47, v46
	v_lshlrev_b64 v[28:29], 3, v[28:29]
	s_delay_alu instid0(VALU_DEP_1) | instskip(NEXT) | instid1(VALU_DEP_1)
	v_add_co_u32 v28, s4, v36, v28
	v_add_co_ci_u32_e64 v29, s4, v37, v29, s4
	global_load_b64 v[28:29], v[28:29], off
.LBB1_26:                               ;   in Loop: Header=BB1_9 Depth=2
	s_or_b32 exec_lo, exec_lo, s8
	v_mov_b32_e32 v34, 0
	v_mov_b32_e32 v35, 0
	s_or_b32 s4, s3, s6
	s_delay_alu instid0(SALU_CYCLE_1) | instskip(NEXT) | instid1(SALU_CYCLE_1)
	s_or_b32 s4, s4, s1
	s_xor_b32 s4, s4, -1
	s_delay_alu instid0(VALU_DEP_1)
	v_dual_mov_b32 v43, v35 :: v_dual_mov_b32 v42, v34
	s_and_saveexec_b32 s8, s4
	s_cbranch_execz .LBB1_28
; %bb.27:                               ;   in Loop: Header=BB1_9 Depth=2
	v_mad_u64_u32 v[42:43], null, v22, s30, 0
	s_delay_alu instid0(VALU_DEP_1) | instskip(NEXT) | instid1(VALU_DEP_1)
	v_add3_u32 v43, v43, v51, v50
	v_lshlrev_b64 v[42:43], 3, v[42:43]
	s_delay_alu instid0(VALU_DEP_1) | instskip(NEXT) | instid1(VALU_DEP_1)
	v_add_co_u32 v42, s4, v36, v42
	v_add_co_ci_u32_e64 v43, s4, v37, v43, s4
	global_load_b64 v[42:43], v[42:43], off
.LBB1_28:                               ;   in Loop: Header=BB1_9 Depth=2
	s_or_b32 exec_lo, exec_lo, s8
	s_or_b32 s4, s3, s7
	s_delay_alu instid0(SALU_CYCLE_1) | instskip(NEXT) | instid1(SALU_CYCLE_1)
	s_or_b32 s4, s4, s1
	s_xor_b32 s4, s4, -1
	s_delay_alu instid0(SALU_CYCLE_1)
	s_and_saveexec_b32 s8, s4
	s_cbranch_execz .LBB1_30
; %bb.29:                               ;   in Loop: Header=BB1_9 Depth=2
	v_mad_u64_u32 v[34:35], null, v24, s30, 0
	s_delay_alu instid0(VALU_DEP_1) | instskip(NEXT) | instid1(VALU_DEP_1)
	v_add3_u32 v35, v35, v66, v65
	v_lshlrev_b64 v[34:35], 3, v[34:35]
	s_delay_alu instid0(VALU_DEP_1) | instskip(NEXT) | instid1(VALU_DEP_1)
	v_add_co_u32 v34, s4, v36, v34
	v_add_co_ci_u32_e64 v35, s4, v37, v35, s4
	global_load_b64 v[34:35], v[34:35], off
.LBB1_30:                               ;   in Loop: Header=BB1_9 Depth=2
	s_or_b32 exec_lo, exec_lo, s8
	v_add_nc_u32_e32 v44, s42, v40
	s_delay_alu instid0(VALU_DEP_1) | instskip(SKIP_2) | instid1(VALU_DEP_3)
	v_ashrrev_i32_e32 v45, 31, v44
	v_mul_lo_u32 v48, v44, s29
	v_mad_u64_u32 v[36:37], null, v44, s28, 0
	v_mul_lo_u32 v49, v45, s28
	s_delay_alu instid0(VALU_DEP_1) | instskip(NEXT) | instid1(VALU_DEP_1)
	v_add3_u32 v37, v37, v48, v49
	v_lshlrev_b64 v[48:49], 3, v[36:37]
	v_mov_b32_e32 v36, 0
	v_mov_b32_e32 v37, 0
	v_cmp_le_i64_e64 s4, v[14:15], v[44:45]
	s_delay_alu instid0(VALU_DEP_4) | instskip(NEXT) | instid1(VALU_DEP_1)
	v_add_co_u32 v67, s8, v54, v48
	v_add_co_ci_u32_e64 v68, s8, v55, v49, s8
	s_delay_alu instid0(VALU_DEP_3) | instskip(SKIP_2) | instid1(SALU_CYCLE_1)
	s_or_b32 s63, s4, s5
	v_dual_mov_b32 v49, v37 :: v_dual_mov_b32 v48, v36
	s_or_b32 s8, s63, s1
	s_xor_b32 s8, s8, -1
	s_delay_alu instid0(SALU_CYCLE_1)
	s_and_saveexec_b32 s63, s8
	s_cbranch_execz .LBB1_32
; %bb.31:                               ;   in Loop: Header=BB1_9 Depth=2
	v_mad_u64_u32 v[48:49], null, v20, s30, 0
	s_delay_alu instid0(VALU_DEP_1) | instskip(NEXT) | instid1(VALU_DEP_1)
	v_add3_u32 v49, v49, v47, v46
	v_lshlrev_b64 v[46:47], 3, v[48:49]
	s_delay_alu instid0(VALU_DEP_1) | instskip(NEXT) | instid1(VALU_DEP_1)
	v_add_co_u32 v46, s8, v67, v46
	v_add_co_ci_u32_e64 v47, s8, v68, v47, s8
	global_load_b64 v[48:49], v[46:47], off
.LBB1_32:                               ;   in Loop: Header=BB1_9 Depth=2
	s_or_b32 exec_lo, exec_lo, s63
	s_or_b32 s8, s4, s6
	s_delay_alu instid0(SALU_CYCLE_1) | instskip(NEXT) | instid1(SALU_CYCLE_1)
	s_or_b32 s8, s8, s1
	s_xor_b32 s8, s8, -1
	s_delay_alu instid0(SALU_CYCLE_1)
	s_and_saveexec_b32 s63, s8
	s_cbranch_execz .LBB1_34
; %bb.33:                               ;   in Loop: Header=BB1_9 Depth=2
	v_mad_u64_u32 v[36:37], null, v22, s30, 0
	s_delay_alu instid0(VALU_DEP_1) | instskip(NEXT) | instid1(VALU_DEP_1)
	v_add3_u32 v37, v37, v51, v50
	v_lshlrev_b64 v[36:37], 3, v[36:37]
	s_delay_alu instid0(VALU_DEP_1) | instskip(NEXT) | instid1(VALU_DEP_1)
	v_add_co_u32 v36, s8, v67, v36
	v_add_co_ci_u32_e64 v37, s8, v68, v37, s8
	global_load_b64 v[36:37], v[36:37], off
.LBB1_34:                               ;   in Loop: Header=BB1_9 Depth=2
	s_or_b32 exec_lo, exec_lo, s63
	s_or_b32 s8, s4, s7
	v_mov_b32_e32 v46, 0
	v_mov_b32_e32 v47, 0
	s_or_b32 s8, s8, s1
	s_delay_alu instid0(SALU_CYCLE_1) | instskip(NEXT) | instid1(SALU_CYCLE_1)
	s_xor_b32 s8, s8, -1
	s_and_saveexec_b32 s63, s8
	s_cbranch_execz .LBB1_36
; %bb.35:                               ;   in Loop: Header=BB1_9 Depth=2
	v_mad_u64_u32 v[46:47], null, v24, s30, 0
	s_delay_alu instid0(VALU_DEP_1) | instskip(NEXT) | instid1(VALU_DEP_1)
	v_add3_u32 v47, v47, v66, v65
	v_lshlrev_b64 v[46:47], 3, v[46:47]
	s_delay_alu instid0(VALU_DEP_1) | instskip(NEXT) | instid1(VALU_DEP_1)
	v_add_co_u32 v46, s8, v67, v46
	v_add_co_ci_u32_e64 v47, s8, v68, v47, s8
	global_load_b64 v[46:47], v[46:47], off
.LBB1_36:                               ;   in Loop: Header=BB1_9 Depth=2
	s_or_b32 exec_lo, exec_lo, s63
	v_mul_lo_u32 v31, v31, s20
	v_mul_lo_u32 v65, v30, s21
	v_mad_u64_u32 v[50:51], null, v30, s20, 0
	s_or_b32 s63, s1, s5
	s_delay_alu instid0(SALU_CYCLE_1) | instskip(NEXT) | instid1(SALU_CYCLE_1)
	s_or_b32 s5, vcc_lo, s63
	s_xor_b32 s5, s5, -1
	s_delay_alu instid0(VALU_DEP_1)
	v_add3_u32 v30, v51, v65, v31
	s_and_saveexec_b32 s64, s5
	s_cbranch_execz .LBB1_39
; %bb.37:                               ;   in Loop: Header=BB1_9 Depth=2
	ds_load_b64 v[65:66], v56
	s_waitcnt vmcnt(0)
	v_cmp_u_f64_e64 s8, v[32:33], v[32:33]
	s_waitcnt lgkmcnt(0)
	v_cmp_gt_f64_e64 s5, v[32:33], v[65:66]
	s_delay_alu instid0(VALU_DEP_1) | instskip(NEXT) | instid1(SALU_CYCLE_1)
	s_or_b32 s5, s8, s5
	s_and_b32 exec_lo, exec_lo, s5
	s_cbranch_execz .LBB1_39
; %bb.38:                               ;   in Loop: Header=BB1_9 Depth=2
	v_add_co_u32 v65, s5, v50, v20
	s_delay_alu instid0(VALU_DEP_1)
	v_add_co_ci_u32_e64 v66, s5, v30, v21, s5
	ds_store_b64 v56, v[32:33]
	ds_store_b64 v58, v[65:66]
.LBB1_39:                               ;   in Loop: Header=BB1_9 Depth=2
	s_or_b32 exec_lo, exec_lo, s64
	s_or_b32 s8, s1, s6
	s_delay_alu instid0(SALU_CYCLE_1) | instskip(NEXT) | instid1(SALU_CYCLE_1)
	s_or_b32 s5, vcc_lo, s8
	s_xor_b32 s5, s5, -1
	s_delay_alu instid0(SALU_CYCLE_1)
	s_and_saveexec_b32 s64, s5
	s_cbranch_execz .LBB1_42
; %bb.40:                               ;   in Loop: Header=BB1_9 Depth=2
	s_waitcnt vmcnt(0)
	ds_load_b64 v[31:32], v56
	v_cmp_u_f64_e64 s6, v[26:27], v[26:27]
	s_waitcnt lgkmcnt(0)
	v_cmp_gt_f64_e64 s5, v[26:27], v[31:32]
	s_delay_alu instid0(VALU_DEP_1) | instskip(NEXT) | instid1(SALU_CYCLE_1)
	s_or_b32 s5, s6, s5
	s_and_b32 exec_lo, exec_lo, s5
	s_cbranch_execz .LBB1_42
; %bb.41:                               ;   in Loop: Header=BB1_9 Depth=2
	v_add_co_u32 v31, s5, v50, v22
	s_delay_alu instid0(VALU_DEP_1)
	v_add_co_ci_u32_e64 v32, s5, v30, v23, s5
	ds_store_b64 v56, v[26:27]
	ds_store_b64 v58, v[31:32]
.LBB1_42:                               ;   in Loop: Header=BB1_9 Depth=2
	s_or_b32 exec_lo, exec_lo, s64
	s_or_b32 s6, s1, s7
	s_delay_alu instid0(SALU_CYCLE_1) | instskip(NEXT) | instid1(SALU_CYCLE_1)
	s_or_b32 s5, vcc_lo, s6
	s_xor_b32 s5, s5, -1
	s_delay_alu instid0(SALU_CYCLE_1)
	s_and_saveexec_b32 s7, s5
	s_cbranch_execz .LBB1_45
; %bb.43:                               ;   in Loop: Header=BB1_9 Depth=2
	s_waitcnt vmcnt(0)
	ds_load_b64 v[26:27], v56
	v_cmp_u_f64_e64 s5, v[38:39], v[38:39]
	s_waitcnt lgkmcnt(0)
	v_cmp_gt_f64_e32 vcc_lo, v[38:39], v[26:27]
	s_delay_alu instid0(VALU_DEP_2) | instskip(NEXT) | instid1(SALU_CYCLE_1)
	s_or_b32 s5, s5, vcc_lo
	s_and_b32 exec_lo, exec_lo, s5
	s_cbranch_execz .LBB1_45
; %bb.44:                               ;   in Loop: Header=BB1_9 Depth=2
	v_add_co_u32 v26, vcc_lo, v50, v24
	v_add_co_ci_u32_e32 v27, vcc_lo, v30, v25, vcc_lo
	ds_store_b64 v56, v[38:39]
	ds_store_b64 v58, v[26:27]
.LBB1_45:                               ;   in Loop: Header=BB1_9 Depth=2
	s_or_b32 exec_lo, exec_lo, s7
	v_mul_lo_u32 v30, v41, s20
	v_mul_lo_u32 v31, v40, s21
	s_waitcnt vmcnt(0)
	v_mad_u64_u32 v[26:27], null, v40, s20, 0
	s_or_b32 s5, s3, s63
	s_delay_alu instid0(SALU_CYCLE_1) | instskip(NEXT) | instid1(VALU_DEP_1)
	s_xor_b32 s5, s5, -1
	v_add3_u32 v27, v27, v31, v30
	s_and_saveexec_b32 s7, s5
	s_cbranch_execz .LBB1_48
; %bb.46:                               ;   in Loop: Header=BB1_9 Depth=2
	ds_load_b64 v[30:31], v56
	v_cmp_u_f64_e64 s5, v[28:29], v[28:29]
	s_waitcnt lgkmcnt(0)
	v_cmp_gt_f64_e32 vcc_lo, v[28:29], v[30:31]
	s_delay_alu instid0(VALU_DEP_2) | instskip(NEXT) | instid1(SALU_CYCLE_1)
	s_or_b32 s5, s5, vcc_lo
	s_and_b32 exec_lo, exec_lo, s5
	s_cbranch_execz .LBB1_48
; %bb.47:                               ;   in Loop: Header=BB1_9 Depth=2
	v_add_co_u32 v30, vcc_lo, v26, v20
	v_add_co_ci_u32_e32 v31, vcc_lo, v27, v21, vcc_lo
	ds_store_b64 v56, v[28:29]
	ds_store_b64 v58, v[30:31]
.LBB1_48:                               ;   in Loop: Header=BB1_9 Depth=2
	s_or_b32 exec_lo, exec_lo, s7
	s_or_b32 s5, s3, s8
	s_delay_alu instid0(SALU_CYCLE_1) | instskip(NEXT) | instid1(SALU_CYCLE_1)
	s_xor_b32 s5, s5, -1
	s_and_saveexec_b32 s7, s5
	s_cbranch_execz .LBB1_51
; %bb.49:                               ;   in Loop: Header=BB1_9 Depth=2
	ds_load_b64 v[28:29], v56
	v_cmp_u_f64_e64 s5, v[42:43], v[42:43]
	s_waitcnt lgkmcnt(0)
	v_cmp_gt_f64_e32 vcc_lo, v[42:43], v[28:29]
	s_delay_alu instid0(VALU_DEP_2) | instskip(NEXT) | instid1(SALU_CYCLE_1)
	s_or_b32 s5, s5, vcc_lo
	s_and_b32 exec_lo, exec_lo, s5
	s_cbranch_execz .LBB1_51
; %bb.50:                               ;   in Loop: Header=BB1_9 Depth=2
	v_add_co_u32 v28, vcc_lo, v26, v22
	v_add_co_ci_u32_e32 v29, vcc_lo, v27, v23, vcc_lo
	ds_store_b64 v56, v[42:43]
	ds_store_b64 v58, v[28:29]
.LBB1_51:                               ;   in Loop: Header=BB1_9 Depth=2
	s_or_b32 exec_lo, exec_lo, s7
	s_or_b32 s3, s3, s6
	s_delay_alu instid0(SALU_CYCLE_1) | instskip(NEXT) | instid1(SALU_CYCLE_1)
	s_xor_b32 s3, s3, -1
	s_and_saveexec_b32 s5, s3
	s_cbranch_execz .LBB1_54
; %bb.52:                               ;   in Loop: Header=BB1_9 Depth=2
	ds_load_b64 v[28:29], v56
	v_cmp_u_f64_e64 s3, v[34:35], v[34:35]
	s_waitcnt lgkmcnt(0)
	v_cmp_gt_f64_e32 vcc_lo, v[34:35], v[28:29]
	s_delay_alu instid0(VALU_DEP_2) | instskip(NEXT) | instid1(SALU_CYCLE_1)
	s_or_b32 s3, s3, vcc_lo
	s_and_b32 exec_lo, exec_lo, s3
	s_cbranch_execz .LBB1_54
; %bb.53:                               ;   in Loop: Header=BB1_9 Depth=2
	v_add_co_u32 v26, vcc_lo, v26, v24
	v_add_co_ci_u32_e32 v27, vcc_lo, v27, v25, vcc_lo
	ds_store_b64 v56, v[34:35]
	ds_store_b64 v58, v[26:27]
.LBB1_54:                               ;   in Loop: Header=BB1_9 Depth=2
	s_or_b32 exec_lo, exec_lo, s5
	v_mul_lo_u32 v28, v45, s20
	v_mul_lo_u32 v29, v44, s21
	v_mad_u64_u32 v[26:27], null, v44, s20, 0
	s_or_b32 s3, s4, s63
	s_delay_alu instid0(SALU_CYCLE_1) | instskip(NEXT) | instid1(VALU_DEP_1)
	s_xor_b32 s3, s3, -1
	v_add3_u32 v27, v27, v29, v28
	s_and_saveexec_b32 s5, s3
	s_cbranch_execz .LBB1_57
; %bb.55:                               ;   in Loop: Header=BB1_9 Depth=2
	ds_load_b64 v[28:29], v56
	v_cmp_u_f64_e64 s3, v[48:49], v[48:49]
	s_waitcnt lgkmcnt(0)
	v_cmp_gt_f64_e32 vcc_lo, v[48:49], v[28:29]
	s_delay_alu instid0(VALU_DEP_2) | instskip(NEXT) | instid1(SALU_CYCLE_1)
	s_or_b32 s3, s3, vcc_lo
	s_and_b32 exec_lo, exec_lo, s3
	s_cbranch_execz .LBB1_57
; %bb.56:                               ;   in Loop: Header=BB1_9 Depth=2
	v_add_co_u32 v20, vcc_lo, v26, v20
	v_add_co_ci_u32_e32 v21, vcc_lo, v27, v21, vcc_lo
	ds_store_b64 v56, v[48:49]
	ds_store_b64 v58, v[20:21]
.LBB1_57:                               ;   in Loop: Header=BB1_9 Depth=2
	s_or_b32 exec_lo, exec_lo, s5
	s_or_b32 s3, s4, s8
	s_delay_alu instid0(SALU_CYCLE_1) | instskip(NEXT) | instid1(SALU_CYCLE_1)
	s_xor_b32 s3, s3, -1
	s_and_saveexec_b32 s5, s3
	s_cbranch_execz .LBB1_60
; %bb.58:                               ;   in Loop: Header=BB1_9 Depth=2
	ds_load_b64 v[20:21], v56
	v_cmp_u_f64_e64 s3, v[36:37], v[36:37]
	s_waitcnt lgkmcnt(0)
	v_cmp_gt_f64_e32 vcc_lo, v[36:37], v[20:21]
	s_delay_alu instid0(VALU_DEP_2) | instskip(NEXT) | instid1(SALU_CYCLE_1)
	s_or_b32 s3, s3, vcc_lo
	s_and_b32 exec_lo, exec_lo, s3
	s_cbranch_execz .LBB1_60
; %bb.59:                               ;   in Loop: Header=BB1_9 Depth=2
	v_add_co_u32 v20, vcc_lo, v26, v22
	v_add_co_ci_u32_e32 v21, vcc_lo, v27, v23, vcc_lo
	ds_store_b64 v56, v[36:37]
	ds_store_b64 v58, v[20:21]
.LBB1_60:                               ;   in Loop: Header=BB1_9 Depth=2
	s_or_b32 exec_lo, exec_lo, s5
	s_or_b32 s3, s4, s6
	s_delay_alu instid0(SALU_CYCLE_1) | instskip(NEXT) | instid1(SALU_CYCLE_1)
	s_xor_b32 s3, s3, -1
	s_and_saveexec_b32 s4, s3
	s_cbranch_execz .LBB1_63
; %bb.61:                               ;   in Loop: Header=BB1_9 Depth=2
	ds_load_b64 v[20:21], v56
	v_cmp_u_f64_e64 s3, v[46:47], v[46:47]
	s_waitcnt lgkmcnt(0)
	v_cmp_gt_f64_e32 vcc_lo, v[46:47], v[20:21]
	s_delay_alu instid0(VALU_DEP_2) | instskip(NEXT) | instid1(SALU_CYCLE_1)
	s_or_b32 s3, s3, vcc_lo
	s_and_b32 exec_lo, exec_lo, s3
	s_cbranch_execz .LBB1_63
; %bb.62:                               ;   in Loop: Header=BB1_9 Depth=2
	v_add_co_u32 v20, vcc_lo, v26, v24
	v_add_co_ci_u32_e32 v21, vcc_lo, v27, v25, vcc_lo
	ds_store_b64 v56, v[46:47]
	ds_store_b64 v58, v[20:21]
.LBB1_63:                               ;   in Loop: Header=BB1_9 Depth=2
	s_or_b32 exec_lo, exec_lo, s4
	s_branch .LBB1_17
.LBB1_64:                               ;   in Loop: Header=BB1_9 Depth=2
	s_mov_b32 s5, exec_lo
	v_cmpx_lt_i64_e64 v[12:13], v[14:15]
	s_cbranch_execz .LBB1_75
; %bb.65:                               ;   in Loop: Header=BB1_9 Depth=2
	v_cmp_lt_i64_e32 vcc_lo, v[16:17], v[18:19]
	v_dual_mov_b32 v21, v13 :: v_dual_mov_b32 v20, v12
	s_mov_b32 s6, 0
	s_branch .LBB1_67
.LBB1_66:                               ;   in Loop: Header=BB1_67 Depth=3
	s_or_b32 exec_lo, exec_lo, s7
	v_add_co_u32 v20, s3, v20, s12
	s_delay_alu instid0(VALU_DEP_1) | instskip(NEXT) | instid1(VALU_DEP_1)
	v_add_co_ci_u32_e64 v21, s3, s13, v21, s3
	v_cmp_ge_i64_e64 s3, v[20:21], v[14:15]
	s_delay_alu instid0(VALU_DEP_1) | instskip(NEXT) | instid1(SALU_CYCLE_1)
	s_or_b32 s6, s3, s6
	s_and_not1_b32 exec_lo, exec_lo, s6
	s_cbranch_execz .LBB1_75
.LBB1_67:                               ;   Parent Loop BB1_6 Depth=1
                                        ;     Parent Loop BB1_9 Depth=2
                                        ; =>    This Loop Header: Depth=3
                                        ;         Child Loop BB1_70 Depth 4
                                        ;           Child Loop BB1_73 Depth 5
	s_and_saveexec_b32 s7, vcc_lo
	s_cbranch_execz .LBB1_66
; %bb.68:                               ;   in Loop: Header=BB1_67 Depth=3
	v_mul_lo_u32 v22, v21, s28
	v_mul_lo_u32 v23, v20, s29
	v_mad_u64_u32 v[24:25], null, v20, s28, 0
	v_mul_lo_u32 v26, v21, s20
	v_mul_lo_u32 v27, v20, s21
	s_mov_b32 s8, 0
	s_delay_alu instid0(VALU_DEP_3) | instskip(SKIP_1) | instid1(VALU_DEP_2)
	v_add3_u32 v25, v25, v23, v22
	v_mad_u64_u32 v[22:23], null, v20, s20, 0
	v_lshlrev_b64 v[24:25], 3, v[24:25]
	s_delay_alu instid0(VALU_DEP_2) | instskip(NEXT) | instid1(VALU_DEP_2)
	v_add3_u32 v23, v23, v27, v26
	v_add_co_u32 v34, s3, s49, v24
	s_delay_alu instid0(VALU_DEP_1)
	v_add_co_ci_u32_e64 v35, s3, s50, v25, s3
	v_dual_mov_b32 v25, v17 :: v_dual_mov_b32 v24, v16
	s_branch .LBB1_70
.LBB1_69:                               ;   in Loop: Header=BB1_70 Depth=4
	s_set_inst_prefetch_distance 0x2
	s_or_b32 exec_lo, exec_lo, s63
	v_add_co_u32 v24, s3, v24, s37
	s_delay_alu instid0(VALU_DEP_1) | instskip(NEXT) | instid1(VALU_DEP_1)
	v_add_co_ci_u32_e64 v25, s3, s36, v25, s3
	v_cmp_ge_i64_e64 s3, v[24:25], v[18:19]
	s_delay_alu instid0(VALU_DEP_1) | instskip(NEXT) | instid1(SALU_CYCLE_1)
	s_or_b32 s8, s3, s8
	s_and_not1_b32 exec_lo, exec_lo, s8
	s_cbranch_execz .LBB1_66
.LBB1_70:                               ;   Parent Loop BB1_6 Depth=1
                                        ;     Parent Loop BB1_9 Depth=2
                                        ;       Parent Loop BB1_67 Depth=3
                                        ; =>      This Loop Header: Depth=4
                                        ;           Child Loop BB1_73 Depth 5
	s_and_saveexec_b32 s63, s2
	s_cbranch_execz .LBB1_69
; %bb.71:                               ;   in Loop: Header=BB1_70 Depth=4
	s_delay_alu instid0(VALU_DEP_1) | instskip(SKIP_4) | instid1(VALU_DEP_2)
	v_mul_lo_u32 v28, v25, s30
	v_mul_lo_u32 v29, v24, s31
	v_mad_u64_u32 v[26:27], null, v24, s30, 0
	v_mov_b32_e32 v36, v57
	s_mov_b32 s64, 0
	v_add3_u32 v27, v27, v29, v28
	v_dual_mov_b32 v29, v5 :: v_dual_mov_b32 v28, v4
	s_delay_alu instid0(VALU_DEP_2) | instskip(SKIP_1) | instid1(VALU_DEP_1)
	v_lshlrev_b64 v[30:31], 3, v[26:27]
	v_add_co_u32 v26, s3, v24, v22
	v_add_co_ci_u32_e64 v27, s3, v25, v23, s3
	s_delay_alu instid0(VALU_DEP_3) | instskip(NEXT) | instid1(VALU_DEP_1)
	v_add_co_u32 v37, s3, v34, v30
	v_add_co_ci_u32_e64 v38, s3, v35, v31, s3
	v_dual_mov_b32 v31, v2 :: v_dual_mov_b32 v30, v1
	s_set_inst_prefetch_distance 0x1
	s_branch .LBB1_73
	.p2align	6
.LBB1_72:                               ;   in Loop: Header=BB1_73 Depth=5
	s_or_b32 exec_lo, exec_lo, s3
	v_add_co_u32 v30, s3, v30, s14
	s_delay_alu instid0(VALU_DEP_1) | instskip(SKIP_1) | instid1(VALU_DEP_1)
	v_add_co_ci_u32_e64 v31, s3, s15, v31, s3
	v_add_co_u32 v28, s4, v28, s27
	v_add_co_ci_u32_e64 v29, s4, s26, v29, s4
	s_delay_alu instid0(VALU_DEP_3) | instskip(SKIP_1) | instid1(VALU_DEP_2)
	v_cmp_le_i64_e64 s3, s[16:17], v[30:31]
	v_add_nc_u32_e32 v36, s34, v36
	s_or_b32 s64, s3, s64
	s_delay_alu instid0(SALU_CYCLE_1)
	s_and_not1_b32 exec_lo, exec_lo, s64
	s_cbranch_execz .LBB1_69
.LBB1_73:                               ;   Parent Loop BB1_6 Depth=1
                                        ;     Parent Loop BB1_9 Depth=2
                                        ;       Parent Loop BB1_67 Depth=3
                                        ;         Parent Loop BB1_70 Depth=4
                                        ; =>        This Inner Loop Header: Depth=5
	v_lshlrev_b64 v[32:33], 3, v[28:29]
	v_add_nc_u32_e32 v39, v36, v59
	ds_load_b64 v[40:41], v39
	v_add_co_u32 v32, s3, v37, v32
	s_delay_alu instid0(VALU_DEP_1) | instskip(SKIP_4) | instid1(VALU_DEP_1)
	v_add_co_ci_u32_e64 v33, s3, v38, v33, s3
	global_load_b64 v[32:33], v[32:33], off
	s_waitcnt vmcnt(0) lgkmcnt(0)
	v_cmp_gt_f64_e64 s3, v[32:33], v[40:41]
	v_cmp_u_f64_e64 s4, v[32:33], v[32:33]
	s_or_b32 s4, s4, s3
	s_delay_alu instid0(SALU_CYCLE_1)
	s_and_saveexec_b32 s3, s4
	s_cbranch_execz .LBB1_72
; %bb.74:                               ;   in Loop: Header=BB1_73 Depth=5
	v_add_nc_u32_e32 v40, v36, v60
	ds_store_b64 v39, v[32:33]
	ds_store_b64 v40, v[26:27]
	s_branch .LBB1_72
.LBB1_75:                               ;   in Loop: Header=BB1_9 Depth=2
	s_or_b32 exec_lo, exec_lo, s5
	s_and_saveexec_b32 s4, s2
	s_cbranch_execz .LBB1_8
.LBB1_76:                               ;   in Loop: Header=BB1_9 Depth=2
	v_add_co_u32 v16, vcc_lo, v10, v63
	v_add_co_ci_u32_e32 v17, vcc_lo, v11, v64, vcc_lo
	v_mov_b32_e32 v20, v57
	s_mov_b32 s5, 0
	s_delay_alu instid0(VALU_DEP_2) | instskip(NEXT) | instid1(VALU_DEP_1)
	v_lshlrev_b64 v[16:17], 3, v[16:17]
	v_add_co_u32 v18, vcc_lo, s22, v16
	s_delay_alu instid0(VALU_DEP_2) | instskip(NEXT) | instid1(VALU_DEP_2)
	v_add_co_ci_u32_e32 v16, vcc_lo, s23, v17, vcc_lo
	v_mul_lo_u32 v21, s17, v18
	s_delay_alu instid0(VALU_DEP_2) | instskip(SKIP_1) | instid1(VALU_DEP_1)
	v_mul_lo_u32 v19, s16, v16
	v_mad_u64_u32 v[16:17], null, s16, v18, v[6:7]
	v_add3_u32 v17, v21, v17, v19
	v_dual_mov_b32 v19, v2 :: v_dual_mov_b32 v18, v1
	s_set_inst_prefetch_distance 0x1
	.p2align	6
.LBB1_77:                               ;   Parent Loop BB1_6 Depth=1
                                        ;     Parent Loop BB1_9 Depth=2
                                        ; =>    This Inner Loop Header: Depth=3
	v_add_nc_u32_e32 v31, v20, v59
	v_add_nc_u32_e32 v32, v20, v60
	v_add_co_u32 v21, vcc_lo, s44, v16
	v_add_co_ci_u32_e32 v22, vcc_lo, s45, v17, vcc_lo
	ds_load_b64 v[23:24], v31
	ds_load_b64 v[25:26], v32
	v_add_co_u32 v27, vcc_lo, s46, v16
	v_add_co_ci_u32_e32 v28, vcc_lo, s47, v17, vcc_lo
	v_add_co_u32 v18, vcc_lo, v18, s14
	v_add_co_ci_u32_e32 v19, vcc_lo, s15, v19, vcc_lo
	v_add_co_u32 v16, vcc_lo, v16, s24
	v_dual_mov_b32 v29, v8 :: v_dual_add_nc_u32 v20, s34, v20
	s_delay_alu instid0(VALU_DEP_3)
	v_cmp_le_i64_e64 s3, s[16:17], v[18:19]
	v_add_co_ci_u32_e32 v17, vcc_lo, s25, v17, vcc_lo
	v_mov_b32_e32 v30, v8
	ds_store_b64 v31, v[8:9]
	ds_store_b64 v32, v[29:30]
	s_or_b32 s5, s3, s5
	s_waitcnt lgkmcnt(3)
	global_store_b64 v[21:22], v[23:24], off
	s_waitcnt lgkmcnt(2)
	global_store_b64 v[27:28], v[25:26], off
	s_and_not1_b32 exec_lo, exec_lo, s5
	s_cbranch_execnz .LBB1_77
	s_branch .LBB1_8
.LBB1_78:
	s_nop 0
	s_sendmsg sendmsg(MSG_DEALLOC_VGPRS)
	s_endpgm
	.section	.rodata,"a",@progbits
	.p2align	6, 0x0
	.amdhsa_kernel _ZN2at6native12_GLOBAL__N_121max_pool_forward_nhwcIdlEEvPKT_iT0_S6_S6_S6_S6_iiiiiiiiS6_S6_S6_S6_iiPS3_Pl
		.amdhsa_group_segment_fixed_size 0
		.amdhsa_private_segment_fixed_size 0
		.amdhsa_kernarg_size 400
		.amdhsa_user_sgpr_count 13
		.amdhsa_user_sgpr_dispatch_ptr 0
		.amdhsa_user_sgpr_queue_ptr 0
		.amdhsa_user_sgpr_kernarg_segment_ptr 1
		.amdhsa_user_sgpr_dispatch_id 0
		.amdhsa_user_sgpr_private_segment_size 0
		.amdhsa_wavefront_size32 1
		.amdhsa_uses_dynamic_stack 0
		.amdhsa_enable_private_segment 0
		.amdhsa_system_sgpr_workgroup_id_x 1
		.amdhsa_system_sgpr_workgroup_id_y 1
		.amdhsa_system_sgpr_workgroup_id_z 1
		.amdhsa_system_sgpr_workgroup_info 0
		.amdhsa_system_vgpr_workitem_id 2
		.amdhsa_next_free_vgpr 69
		.amdhsa_next_free_sgpr 65
		.amdhsa_reserve_vcc 1
		.amdhsa_float_round_mode_32 0
		.amdhsa_float_round_mode_16_64 0
		.amdhsa_float_denorm_mode_32 3
		.amdhsa_float_denorm_mode_16_64 3
		.amdhsa_dx10_clamp 1
		.amdhsa_ieee_mode 1
		.amdhsa_fp16_overflow 0
		.amdhsa_workgroup_processor_mode 1
		.amdhsa_memory_ordered 1
		.amdhsa_forward_progress 0
		.amdhsa_shared_vgpr_count 0
		.amdhsa_exception_fp_ieee_invalid_op 0
		.amdhsa_exception_fp_denorm_src 0
		.amdhsa_exception_fp_ieee_div_zero 0
		.amdhsa_exception_fp_ieee_overflow 0
		.amdhsa_exception_fp_ieee_underflow 0
		.amdhsa_exception_fp_ieee_inexact 0
		.amdhsa_exception_int_div_zero 0
	.end_amdhsa_kernel
	.section	.text._ZN2at6native12_GLOBAL__N_121max_pool_forward_nhwcIdlEEvPKT_iT0_S6_S6_S6_S6_iiiiiiiiS6_S6_S6_S6_iiPS3_Pl,"axG",@progbits,_ZN2at6native12_GLOBAL__N_121max_pool_forward_nhwcIdlEEvPKT_iT0_S6_S6_S6_S6_iiiiiiiiS6_S6_S6_S6_iiPS3_Pl,comdat
.Lfunc_end1:
	.size	_ZN2at6native12_GLOBAL__N_121max_pool_forward_nhwcIdlEEvPKT_iT0_S6_S6_S6_S6_iiiiiiiiS6_S6_S6_S6_iiPS3_Pl, .Lfunc_end1-_ZN2at6native12_GLOBAL__N_121max_pool_forward_nhwcIdlEEvPKT_iT0_S6_S6_S6_S6_iiiiiiiiS6_S6_S6_S6_iiPS3_Pl
                                        ; -- End function
	.section	.AMDGPU.csdata,"",@progbits
; Kernel info:
; codeLenInByte = 5524
; NumSgprs: 67
; NumVgprs: 69
; ScratchSize: 0
; MemoryBound: 0
; FloatMode: 240
; IeeeMode: 1
; LDSByteSize: 0 bytes/workgroup (compile time only)
; SGPRBlocks: 8
; VGPRBlocks: 8
; NumSGPRsForWavesPerEU: 67
; NumVGPRsForWavesPerEU: 69
; Occupancy: 16
; WaveLimiterHint : 1
; COMPUTE_PGM_RSRC2:SCRATCH_EN: 0
; COMPUTE_PGM_RSRC2:USER_SGPR: 13
; COMPUTE_PGM_RSRC2:TRAP_HANDLER: 0
; COMPUTE_PGM_RSRC2:TGID_X_EN: 1
; COMPUTE_PGM_RSRC2:TGID_Y_EN: 1
; COMPUTE_PGM_RSRC2:TGID_Z_EN: 1
; COMPUTE_PGM_RSRC2:TIDIG_COMP_CNT: 2
	.section	.text._ZN2at6native12_GLOBAL__N_121max_pool_forward_nchwIdiEEvT0_PKT_llliiiiiiiiiiPS4_Pl,"axG",@progbits,_ZN2at6native12_GLOBAL__N_121max_pool_forward_nchwIdiEEvT0_PKT_llliiiiiiiiiiPS4_Pl,comdat
	.globl	_ZN2at6native12_GLOBAL__N_121max_pool_forward_nchwIdiEEvT0_PKT_llliiiiiiiiiiPS4_Pl ; -- Begin function _ZN2at6native12_GLOBAL__N_121max_pool_forward_nchwIdiEEvT0_PKT_llliiiiiiiiiiPS4_Pl
	.p2align	8
	.type	_ZN2at6native12_GLOBAL__N_121max_pool_forward_nchwIdiEEvT0_PKT_llliiiiiiiiiiPS4_Pl,@function
_ZN2at6native12_GLOBAL__N_121max_pool_forward_nchwIdiEEvT0_PKT_llliiiiiiiiiiPS4_Pl: ; @_ZN2at6native12_GLOBAL__N_121max_pool_forward_nchwIdiEEvT0_PKT_llliiiiiiiiiiPS4_Pl
; %bb.0:
	s_clause 0x1
	s_load_b32 s24, s[0:1], 0x0
	s_load_b32 s4, s[0:1], 0x6c
	v_mov_b32_e32 v2, 0
	s_delay_alu instid0(VALU_DEP_1)
	v_mov_b32_e32 v1, v2
	s_waitcnt lgkmcnt(0)
	s_ashr_i32 s25, s24, 31
	s_add_u32 s2, s0, 0x60
	s_addc_u32 s3, s1, 0
	s_and_b32 s28, s4, 0xffff
	s_mov_b32 s4, exec_lo
	v_mad_u64_u32 v[4:5], null, s28, s15, v[0:1]
	s_delay_alu instid0(VALU_DEP_1)
	v_cmpx_gt_i64_e64 s[24:25], v[4:5]
	s_cbranch_execz .LBB2_15
; %bb.1:
	s_load_b256 s[4:11], s[0:1], 0x28
	s_load_b32 s2, s[2:3], 0x0
	s_clause 0x2
	s_load_b64 s[26:27], s[0:1], 0x48
	s_load_b256 s[12:19], s[0:1], 0x8
	s_load_b128 s[20:23], s[0:1], 0x50
	s_mov_b32 s33, 0
	s_waitcnt lgkmcnt(0)
	s_abs_i32 s42, s5
	s_abs_i32 s44, s4
	v_cvt_f32_u32_e32 v0, s42
	v_cvt_f32_u32_e32 v1, s44
	s_max_u32 s39, s26, 1
	s_max_u32 s40, s27, 1
	s_add_i32 s1, s6, -1
	v_rcp_iflag_f32_e32 v0, v0
	v_rcp_iflag_f32_e32 v1, v1
	v_cvt_f32_u32_e32 v3, s39
	v_cvt_f32_u32_e32 v6, s40
	;; [unrolled: 1-line block ×3, first 2 shown]
	s_mul_i32 s38, s2, s28
	s_mul_i32 s2, s18, s17
	;; [unrolled: 1-line block ×3, first 2 shown]
	s_sub_i32 s1, 0, s42
	v_rcp_iflag_f32_e32 v3, v3
	s_waitcnt_depctr 0xfff
	v_dual_mul_f32 v0, 0x4f7ffffe, v0 :: v_dual_mul_f32 v1, 0x4f7ffffe, v1
	v_rcp_iflag_f32_e32 v6, v6
	v_rcp_iflag_f32_e32 v7, v7
	s_sub_i32 s28, 0, s14
	s_delay_alu instid0(VALU_DEP_1)
	v_cvt_u32_f32_e32 v0, v0
	v_cvt_u32_f32_e32 v1, v1
	s_sub_i32 s29, 0, s44
	s_sub_i32 s30, 0, s39
	v_mul_f32_e32 v3, 0x4f7ffffe, v3
	v_mul_lo_u32 v8, s1, v0
	s_sub_i32 s31, 0, s40
	s_waitcnt_depctr 0xfff
	v_mul_f32_e32 v6, 0x4f7ffffe, v6
	v_mul_lo_u32 v9, s29, v1
	v_cvt_u32_f32_e32 v3, v3
	s_mul_hi_u32 s6, s18, s16
	s_add_i32 s3, s7, -1
	v_cvt_u32_f32_e32 v6, v6
	v_mul_hi_u32 v8, v0, v8
	v_mul_f32_e32 v7, 0x4f7ffffe, v7
	v_mul_lo_u32 v10, s30, v3
	s_mul_i32 s7, s19, s16
	v_mul_lo_u32 v11, s31, v6
	s_add_i32 s1, s6, s2
	v_mul_hi_u32 v9, v1, v9
	s_mul_i32 s0, s18, s16
	v_add_nc_u32_e32 v12, v0, v8
	v_cvt_u32_f32_e32 v7, v7
	v_mul_hi_u32 v10, v3, v10
	s_add_i32 s1, s1, s7
	v_mul_hi_u32 v11, v6, v11
	s_lshl_b64 s[6:7], s[0:1], 3
	v_mul_lo_u32 v16, s28, v7
	s_ashr_i32 s0, s26, 31
	s_mul_hi_u32 s1, s18, s26
	s_mul_i32 s0, s18, s0
	v_add_nc_u32_e32 v13, v1, v9
	s_add_i32 s0, s1, s0
	s_mul_i32 s1, s19, s26
	v_add_nc_u32_e32 v14, v3, v10
	v_mul_hi_u32 v0, v7, v16
	v_add_nc_u32_e32 v15, v6, v11
	s_mul_i32 s45, s3, s27
	s_add_i32 s29, s0, s1
	s_mul_i32 s28, s26, s18
	s_ashr_i32 s1, s27, 31
	s_mov_b32 s0, s27
	s_ashr_i32 s41, s5, 31
	v_add_nc_u32_e32 v16, v7, v0
	s_ashr_i32 s43, s4, 31
	s_add_i32 s17, s17, 1
	s_add_i32 s45, s45, 1
	s_sub_i32 s46, 0, s10
	s_sub_i32 s47, 0, s11
	s_lshl_b64 s[30:31], s[28:29], 3
	s_lshl_b64 s[34:35], s[0:1], 3
	s_ashr_i32 s36, s15, 31
	s_branch .LBB2_4
.LBB2_2:                                ;   in Loop: Header=BB2_4 Depth=1
	s_set_inst_prefetch_distance 0x2
	s_or_b32 exec_lo, exec_lo, s29
.LBB2_3:                                ;   in Loop: Header=BB2_4 Depth=1
	s_delay_alu instid0(SALU_CYCLE_1) | instskip(SKIP_4) | instid1(VALU_DEP_3)
	s_or_b32 exec_lo, exec_lo, s3
	v_ashrrev_i32_e32 v7, 31, v4
	v_mov_b32_e32 v6, v4
	v_add_co_u32 v4, vcc_lo, v4, s38
	v_add_co_ci_u32_e32 v5, vcc_lo, 0, v5, vcc_lo
	v_lshlrev_b64 v[6:7], 3, v[6:7]
	v_ashrrev_i32_e32 v1, 31, v0
	s_delay_alu instid0(VALU_DEP_2) | instskip(NEXT) | instid1(VALU_DEP_3)
	v_add_co_u32 v10, vcc_lo, s20, v6
	v_add_co_ci_u32_e32 v11, vcc_lo, s21, v7, vcc_lo
	v_cmp_le_i64_e32 vcc_lo, s[24:25], v[4:5]
	v_add_co_u32 v6, s0, s22, v6
	s_delay_alu instid0(VALU_DEP_1) | instskip(SKIP_3) | instid1(SALU_CYCLE_1)
	v_add_co_ci_u32_e64 v7, s0, s23, v7, s0
	global_store_b64 v[10:11], v[8:9], off
	global_store_b64 v[6:7], v[0:1], off
	s_or_b32 s33, vcc_lo, s33
	s_and_not1_b32 exec_lo, exec_lo, s33
	s_cbranch_execz .LBB2_15
.LBB2_4:                                ; =>This Loop Header: Depth=1
                                        ;     Child Loop BB2_11 Depth 2
                                        ;       Child Loop BB2_13 Depth 3
	v_sub_nc_u32_e32 v0, 0, v4
	s_mov_b32 s0, exec_lo
	s_delay_alu instid0(VALU_DEP_1) | instskip(NEXT) | instid1(VALU_DEP_1)
	v_max_i32_e32 v0, v4, v0
	v_mul_hi_u32 v1, v0, v12
	s_delay_alu instid0(VALU_DEP_1) | instskip(NEXT) | instid1(VALU_DEP_1)
	v_mul_lo_u32 v3, v1, s42
	v_sub_nc_u32_e32 v0, v0, v3
	s_delay_alu instid0(VALU_DEP_1) | instskip(SKIP_1) | instid1(VALU_DEP_2)
	v_subrev_nc_u32_e32 v6, s42, v0
	v_cmp_le_u32_e32 vcc_lo, s42, v0
	v_dual_cndmask_b32 v0, v0, v6 :: v_dual_add_nc_u32 v3, 1, v1
	s_delay_alu instid0(VALU_DEP_1) | instskip(SKIP_1) | instid1(VALU_DEP_3)
	v_cndmask_b32_e32 v1, v1, v3, vcc_lo
	v_ashrrev_i32_e32 v3, 31, v4
	v_cmp_le_u32_e32 vcc_lo, s42, v0
	s_delay_alu instid0(VALU_DEP_3) | instskip(NEXT) | instid1(VALU_DEP_3)
	v_add_nc_u32_e32 v6, 1, v1
	v_xor_b32_e32 v3, s41, v3
	s_delay_alu instid0(VALU_DEP_2) | instskip(NEXT) | instid1(VALU_DEP_1)
	v_cndmask_b32_e32 v0, v1, v6, vcc_lo
	v_xor_b32_e32 v0, v0, v3
	s_delay_alu instid0(VALU_DEP_1) | instskip(NEXT) | instid1(VALU_DEP_1)
	v_sub_nc_u32_e32 v0, v0, v3
	v_sub_nc_u32_e32 v1, 0, v0
	s_delay_alu instid0(VALU_DEP_1) | instskip(NEXT) | instid1(VALU_DEP_1)
	v_max_i32_e32 v1, v0, v1
	v_mul_hi_u32 v3, v1, v13
	s_delay_alu instid0(VALU_DEP_1) | instskip(NEXT) | instid1(VALU_DEP_1)
	v_mul_lo_u32 v6, v3, s44
	v_sub_nc_u32_e32 v1, v1, v6
	v_add_nc_u32_e32 v6, 1, v3
	s_delay_alu instid0(VALU_DEP_2) | instskip(SKIP_1) | instid1(VALU_DEP_3)
	v_subrev_nc_u32_e32 v7, s44, v1
	v_cmp_le_u32_e32 vcc_lo, s44, v1
	v_cndmask_b32_e32 v3, v3, v6, vcc_lo
	s_delay_alu instid0(VALU_DEP_3) | instskip(SKIP_1) | instid1(VALU_DEP_3)
	v_cndmask_b32_e32 v1, v1, v7, vcc_lo
	v_ashrrev_i32_e32 v6, 31, v0
	v_add_nc_u32_e32 v7, 1, v3
	s_delay_alu instid0(VALU_DEP_3) | instskip(NEXT) | instid1(VALU_DEP_3)
	v_cmp_le_u32_e32 vcc_lo, s44, v1
	v_xor_b32_e32 v6, s43, v6
	s_delay_alu instid0(VALU_DEP_3) | instskip(NEXT) | instid1(VALU_DEP_1)
	v_cndmask_b32_e32 v1, v3, v7, vcc_lo
	v_xor_b32_e32 v1, v1, v6
	s_delay_alu instid0(VALU_DEP_1) | instskip(NEXT) | instid1(VALU_DEP_1)
	v_sub_nc_u32_e32 v10, v1, v6
                                        ; implicit-def: $vgpr6_vgpr7
	v_ashrrev_i32_e32 v11, 31, v10
	s_delay_alu instid0(VALU_DEP_1) | instskip(NEXT) | instid1(VALU_DEP_1)
	v_or_b32_e32 v3, s15, v11
	v_cmpx_ne_u64_e32 0, v[2:3]
	s_xor_b32 s1, exec_lo, s0
	s_cbranch_execz .LBB2_6
; %bb.5:                                ;   in Loop: Header=BB2_4 Depth=1
	s_add_u32 s2, s14, s36
	s_mov_b32 s37, s36
	s_addc_u32 s3, s15, s36
	v_mov_b32_e32 v20, v11
	s_xor_b64 s[2:3], s[2:3], s[36:37]
	s_delay_alu instid0(SALU_CYCLE_1) | instskip(SKIP_3) | instid1(VALU_DEP_1)
	v_cvt_f32_u32_e32 v1, s2
	v_cvt_f32_u32_e32 v3, s3
	s_sub_u32 s0, 0, s2
	s_subb_u32 s29, 0, s3
	v_fmac_f32_e32 v1, 0x4f800000, v3
	s_delay_alu instid0(VALU_DEP_1) | instskip(SKIP_2) | instid1(VALU_DEP_1)
	v_rcp_f32_e32 v1, v1
	s_waitcnt_depctr 0xfff
	v_mul_f32_e32 v1, 0x5f7ffffc, v1
	v_mul_f32_e32 v3, 0x2f800000, v1
	s_delay_alu instid0(VALU_DEP_1) | instskip(NEXT) | instid1(VALU_DEP_1)
	v_trunc_f32_e32 v3, v3
	v_fmac_f32_e32 v1, 0xcf800000, v3
	v_cvt_u32_f32_e32 v3, v3
	s_delay_alu instid0(VALU_DEP_2) | instskip(NEXT) | instid1(VALU_DEP_2)
	v_cvt_u32_f32_e32 v1, v1
	v_mul_lo_u32 v6, s0, v3
	s_delay_alu instid0(VALU_DEP_2) | instskip(SKIP_1) | instid1(VALU_DEP_2)
	v_mul_hi_u32 v7, s0, v1
	v_mul_lo_u32 v8, s29, v1
	v_add_nc_u32_e32 v6, v7, v6
	v_mul_lo_u32 v7, s0, v1
	s_delay_alu instid0(VALU_DEP_2) | instskip(NEXT) | instid1(VALU_DEP_2)
	v_add_nc_u32_e32 v6, v6, v8
	v_mul_hi_u32 v8, v1, v7
	s_delay_alu instid0(VALU_DEP_2)
	v_mul_lo_u32 v9, v1, v6
	v_mul_hi_u32 v17, v1, v6
	v_mul_hi_u32 v18, v3, v7
	v_mul_lo_u32 v7, v3, v7
	v_mul_hi_u32 v19, v3, v6
	v_mul_lo_u32 v6, v3, v6
	v_add_co_u32 v8, vcc_lo, v8, v9
	v_add_co_ci_u32_e32 v9, vcc_lo, 0, v17, vcc_lo
	s_delay_alu instid0(VALU_DEP_2) | instskip(NEXT) | instid1(VALU_DEP_2)
	v_add_co_u32 v7, vcc_lo, v8, v7
	v_add_co_ci_u32_e32 v7, vcc_lo, v9, v18, vcc_lo
	v_add_co_ci_u32_e32 v8, vcc_lo, 0, v19, vcc_lo
	v_mov_b32_e32 v19, v11
	s_delay_alu instid0(VALU_DEP_3) | instskip(NEXT) | instid1(VALU_DEP_3)
	v_add_co_u32 v6, vcc_lo, v7, v6
	v_add_co_ci_u32_e32 v7, vcc_lo, 0, v8, vcc_lo
	s_delay_alu instid0(VALU_DEP_2) | instskip(NEXT) | instid1(VALU_DEP_2)
	v_add_co_u32 v1, vcc_lo, v1, v6
	v_add_co_ci_u32_e32 v3, vcc_lo, v3, v7, vcc_lo
	s_delay_alu instid0(VALU_DEP_2) | instskip(SKIP_1) | instid1(VALU_DEP_3)
	v_mul_hi_u32 v6, s0, v1
	v_mul_lo_u32 v8, s29, v1
	v_mul_lo_u32 v7, s0, v3
	s_delay_alu instid0(VALU_DEP_1) | instskip(SKIP_1) | instid1(VALU_DEP_2)
	v_add_nc_u32_e32 v6, v6, v7
	v_mul_lo_u32 v7, s0, v1
	v_add_nc_u32_e32 v6, v6, v8
	s_delay_alu instid0(VALU_DEP_2) | instskip(NEXT) | instid1(VALU_DEP_2)
	v_mul_hi_u32 v8, v1, v7
	v_mul_lo_u32 v9, v1, v6
	v_mul_hi_u32 v17, v1, v6
	v_mul_hi_u32 v18, v3, v7
	v_mul_lo_u32 v7, v3, v7
	v_mul_hi_u32 v21, v3, v6
	v_mul_lo_u32 v6, v3, v6
	v_add_co_u32 v8, vcc_lo, v8, v9
	v_add_co_ci_u32_e32 v9, vcc_lo, 0, v17, vcc_lo
	s_delay_alu instid0(VALU_DEP_2) | instskip(NEXT) | instid1(VALU_DEP_2)
	v_add_co_u32 v7, vcc_lo, v8, v7
	v_add_co_ci_u32_e32 v7, vcc_lo, v9, v18, vcc_lo
	v_add_co_ci_u32_e32 v8, vcc_lo, 0, v21, vcc_lo
	v_add_co_u32 v9, vcc_lo, v10, v19
	v_add_co_ci_u32_e32 v17, vcc_lo, v11, v20, vcc_lo
	s_delay_alu instid0(VALU_DEP_4) | instskip(NEXT) | instid1(VALU_DEP_4)
	v_add_co_u32 v6, vcc_lo, v7, v6
	v_add_co_ci_u32_e32 v7, vcc_lo, 0, v8, vcc_lo
	s_delay_alu instid0(VALU_DEP_4) | instskip(NEXT) | instid1(VALU_DEP_3)
	v_xor_b32_e32 v21, v9, v19
	v_add_co_u32 v1, vcc_lo, v1, v6
	s_delay_alu instid0(VALU_DEP_3) | instskip(SKIP_1) | instid1(VALU_DEP_3)
	v_add_co_ci_u32_e32 v3, vcc_lo, v3, v7, vcc_lo
	v_xor_b32_e32 v22, v17, v20
	v_mul_hi_u32 v23, v21, v1
	s_delay_alu instid0(VALU_DEP_3) | instskip(NEXT) | instid1(VALU_DEP_3)
	v_mad_u64_u32 v[6:7], null, v21, v3, 0
	v_mad_u64_u32 v[8:9], null, v22, v1, 0
	;; [unrolled: 1-line block ×3, first 2 shown]
	s_delay_alu instid0(VALU_DEP_3) | instskip(NEXT) | instid1(VALU_DEP_4)
	v_add_co_u32 v1, vcc_lo, v23, v6
	v_add_co_ci_u32_e32 v3, vcc_lo, 0, v7, vcc_lo
	s_delay_alu instid0(VALU_DEP_2) | instskip(NEXT) | instid1(VALU_DEP_2)
	v_add_co_u32 v1, vcc_lo, v1, v8
	v_add_co_ci_u32_e32 v1, vcc_lo, v3, v9, vcc_lo
	v_add_co_ci_u32_e32 v3, vcc_lo, 0, v18, vcc_lo
	s_delay_alu instid0(VALU_DEP_2) | instskip(NEXT) | instid1(VALU_DEP_2)
	v_add_co_u32 v1, vcc_lo, v1, v17
	v_add_co_ci_u32_e32 v3, vcc_lo, 0, v3, vcc_lo
	s_delay_alu instid0(VALU_DEP_2) | instskip(SKIP_1) | instid1(VALU_DEP_3)
	v_mul_lo_u32 v8, s3, v1
	v_mad_u64_u32 v[6:7], null, s2, v1, 0
	v_mul_lo_u32 v9, s2, v3
	s_delay_alu instid0(VALU_DEP_2) | instskip(NEXT) | instid1(VALU_DEP_2)
	v_sub_co_u32 v6, vcc_lo, v21, v6
	v_add3_u32 v7, v7, v9, v8
	s_delay_alu instid0(VALU_DEP_1) | instskip(NEXT) | instid1(VALU_DEP_1)
	v_sub_nc_u32_e32 v8, v22, v7
	v_subrev_co_ci_u32_e64 v8, s0, s3, v8, vcc_lo
	v_add_co_u32 v9, s0, v1, 2
	s_delay_alu instid0(VALU_DEP_1) | instskip(SKIP_3) | instid1(VALU_DEP_3)
	v_add_co_ci_u32_e64 v17, s0, 0, v3, s0
	v_sub_co_u32 v18, s0, v6, s2
	v_sub_co_ci_u32_e32 v7, vcc_lo, v22, v7, vcc_lo
	v_subrev_co_ci_u32_e64 v8, s0, 0, v8, s0
	v_cmp_le_u32_e32 vcc_lo, s2, v18
	s_delay_alu instid0(VALU_DEP_3) | instskip(SKIP_1) | instid1(VALU_DEP_4)
	v_cmp_eq_u32_e64 s0, s3, v7
	v_cndmask_b32_e64 v18, 0, -1, vcc_lo
	v_cmp_le_u32_e32 vcc_lo, s3, v8
	v_cndmask_b32_e64 v21, 0, -1, vcc_lo
	v_cmp_le_u32_e32 vcc_lo, s2, v6
	;; [unrolled: 2-line block ×3, first 2 shown]
	v_cndmask_b32_e64 v22, 0, -1, vcc_lo
	v_cmp_eq_u32_e32 vcc_lo, s3, v8
	s_delay_alu instid0(VALU_DEP_2) | instskip(SKIP_3) | instid1(VALU_DEP_3)
	v_cndmask_b32_e64 v6, v22, v6, s0
	v_cndmask_b32_e32 v8, v21, v18, vcc_lo
	v_add_co_u32 v18, vcc_lo, v1, 1
	v_add_co_ci_u32_e32 v21, vcc_lo, 0, v3, vcc_lo
	v_cmp_ne_u32_e32 vcc_lo, 0, v8
	s_delay_alu instid0(VALU_DEP_2) | instskip(NEXT) | instid1(VALU_DEP_4)
	v_cndmask_b32_e32 v7, v21, v17, vcc_lo
	v_cndmask_b32_e32 v8, v18, v9, vcc_lo
	v_cmp_ne_u32_e32 vcc_lo, 0, v6
	v_xor_b32_e32 v6, s36, v19
	s_delay_alu instid0(VALU_DEP_4) | instskip(NEXT) | instid1(VALU_DEP_4)
	v_cndmask_b32_e32 v3, v3, v7, vcc_lo
	v_cndmask_b32_e32 v1, v1, v8, vcc_lo
	v_xor_b32_e32 v7, s36, v20
	s_delay_alu instid0(VALU_DEP_2) | instskip(NEXT) | instid1(VALU_DEP_2)
	v_xor_b32_e32 v1, v1, v6
	v_xor_b32_e32 v3, v3, v7
	s_delay_alu instid0(VALU_DEP_2) | instskip(NEXT) | instid1(VALU_DEP_2)
	v_sub_co_u32 v6, vcc_lo, v1, v6
	v_sub_co_ci_u32_e32 v7, vcc_lo, v3, v7, vcc_lo
.LBB2_6:                                ;   in Loop: Header=BB2_4 Depth=1
	s_and_not1_saveexec_b32 s0, s1
; %bb.7:                                ;   in Loop: Header=BB2_4 Depth=1
	v_mul_hi_u32 v1, v10, v16
	s_delay_alu instid0(VALU_DEP_1) | instskip(NEXT) | instid1(VALU_DEP_1)
	v_mul_lo_u32 v3, v1, s14
	v_sub_nc_u32_e32 v3, v10, v3
	s_delay_alu instid0(VALU_DEP_1) | instskip(SKIP_1) | instid1(VALU_DEP_2)
	v_subrev_nc_u32_e32 v7, s14, v3
	v_cmp_le_u32_e32 vcc_lo, s14, v3
	v_dual_cndmask_b32 v3, v3, v7 :: v_dual_add_nc_u32 v6, 1, v1
	s_delay_alu instid0(VALU_DEP_1) | instskip(SKIP_1) | instid1(VALU_DEP_3)
	v_cndmask_b32_e32 v1, v1, v6, vcc_lo
	v_mov_b32_e32 v7, v2
	v_cmp_le_u32_e32 vcc_lo, s14, v3
	s_delay_alu instid0(VALU_DEP_3) | instskip(NEXT) | instid1(VALU_DEP_1)
	v_add_nc_u32_e32 v6, 1, v1
	v_cndmask_b32_e32 v6, v1, v6, vcc_lo
; %bb.8:                                ;   in Loop: Header=BB2_4 Depth=1
	s_or_b32 exec_lo, exec_lo, s0
	v_mul_lo_u32 v1, v10, s4
	v_mul_lo_u32 v3, v0, s5
	s_mov_b32 s3, exec_lo
	s_delay_alu instid0(VALU_DEP_2) | instskip(NEXT) | instid1(VALU_DEP_2)
	v_sub_nc_u32_e32 v0, v0, v1
	v_sub_nc_u32_e32 v1, v4, v3
	s_delay_alu instid0(VALU_DEP_2) | instskip(NEXT) | instid1(VALU_DEP_2)
	v_mul_lo_u32 v21, v0, s8
	v_mul_lo_u32 v20, v1, s9
	s_delay_alu instid0(VALU_DEP_2) | instskip(NEXT) | instid1(VALU_DEP_2)
	v_subrev_nc_u32_e32 v0, s10, v21
	v_subrev_nc_u32_e32 v19, s11, v20
	s_delay_alu instid0(VALU_DEP_2) | instskip(NEXT) | instid1(VALU_DEP_2)
	v_max_i32_e32 v1, 0, v0
	v_max_i32_e32 v3, 0, v19
	s_delay_alu instid0(VALU_DEP_2) | instskip(NEXT) | instid1(VALU_DEP_2)
	v_add_nc_u32_e32 v1, s10, v1
	v_add_nc_u32_e32 v3, s11, v3
	s_delay_alu instid0(VALU_DEP_2) | instskip(NEXT) | instid1(VALU_DEP_2)
	v_cmp_ne_u32_e32 vcc_lo, v1, v21
	v_cmp_ne_u32_e64 s0, v3, v20
	v_cndmask_b32_e64 v8, 0, 1, vcc_lo
	s_delay_alu instid0(VALU_DEP_2) | instskip(NEXT) | instid1(VALU_DEP_2)
	v_cndmask_b32_e64 v9, 0, 1, s0
	v_add_nc_u32_e32 v8, v21, v8
	s_delay_alu instid0(VALU_DEP_2) | instskip(NEXT) | instid1(VALU_DEP_2)
	v_add_nc_u32_e32 v9, v20, v9
	v_sub_nc_u32_e32 v1, v1, v8
	s_delay_alu instid0(VALU_DEP_2) | instskip(NEXT) | instid1(VALU_DEP_2)
	v_sub_nc_u32_e32 v3, v3, v9
	v_mul_hi_u32 v8, v1, v14
	s_delay_alu instid0(VALU_DEP_2) | instskip(NEXT) | instid1(VALU_DEP_2)
	v_mul_hi_u32 v9, v3, v15
	v_mul_lo_u32 v17, v8, s39
	s_delay_alu instid0(VALU_DEP_2) | instskip(NEXT) | instid1(VALU_DEP_2)
	v_mul_lo_u32 v18, v9, s40
	v_sub_nc_u32_e32 v1, v1, v17
	v_add_nc_u32_e32 v17, 1, v8
	s_delay_alu instid0(VALU_DEP_3) | instskip(SKIP_1) | instid1(VALU_DEP_4)
	v_sub_nc_u32_e32 v3, v3, v18
	v_add_nc_u32_e32 v18, 1, v9
	v_cmp_le_u32_e64 s1, s39, v1
	s_delay_alu instid0(VALU_DEP_3) | instskip(SKIP_1) | instid1(VALU_DEP_3)
	v_subrev_nc_u32_e32 v22, s40, v3
	v_cmp_le_u32_e64 s2, s40, v3
	v_cndmask_b32_e64 v8, v8, v17, s1
	v_subrev_nc_u32_e32 v17, s39, v1
	s_delay_alu instid0(VALU_DEP_3) | instskip(SKIP_1) | instid1(VALU_DEP_3)
	v_cndmask_b32_e64 v9, v9, v18, s2
	v_cndmask_b32_e64 v3, v3, v22, s2
	;; [unrolled: 1-line block ×3, first 2 shown]
	v_add_nc_u32_e32 v17, 1, v8
	s_delay_alu instid0(VALU_DEP_4) | instskip(NEXT) | instid1(VALU_DEP_3)
	v_add_nc_u32_e32 v18, 1, v9
	v_cmp_le_u32_e64 s1, s39, v1
	s_delay_alu instid0(VALU_DEP_1) | instskip(SKIP_1) | instid1(VALU_DEP_2)
	v_cndmask_b32_e64 v1, v8, v17, s1
	v_cmp_le_u32_e64 s1, s40, v3
	v_add_co_ci_u32_e32 v1, vcc_lo, 0, v1, vcc_lo
	s_delay_alu instid0(VALU_DEP_2) | instskip(SKIP_2) | instid1(VALU_DEP_4)
	v_cndmask_b32_e64 v3, v9, v18, s1
	v_mov_b32_e32 v8, 0
	v_mov_b32_e32 v9, 0xfff00000
	v_mul_lo_u32 v23, v1, s26
	v_add_nc_u32_e32 v1, s17, v0
	v_add_co_ci_u32_e64 v3, vcc_lo, 0, v3, s0
	s_delay_alu instid0(VALU_DEP_2) | instskip(NEXT) | instid1(VALU_DEP_2)
	v_min_i32_e32 v18, s16, v1
	v_mul_lo_u32 v22, v3, s27
	v_add_nc_u32_e32 v17, v0, v23
	s_delay_alu instid0(VALU_DEP_2) | instskip(NEXT) | instid1(VALU_DEP_1)
	v_add_nc_u32_e32 v3, v19, v22
	v_mad_u64_u32 v[0:1], null, v17, s18, v[3:4]
	v_cmpx_lt_i32_e64 v17, v18
	s_cbranch_execz .LBB2_3
; %bb.9:                                ;   in Loop: Header=BB2_4 Depth=1
	v_mul_lo_u32 v1, v7, s14
	v_mul_lo_u32 v24, v6, s15
	v_mad_u64_u32 v[7:8], null, v6, s14, 0
	v_add3_u32 v23, s46, v21, v23
	v_add3_u32 v20, s47, v20, v22
	s_mov_b32 s29, 0
	s_delay_alu instid0(VALU_DEP_2) | instskip(NEXT) | instid1(VALU_DEP_2)
	v_ashrrev_i32_e32 v9, 31, v23
	v_ashrrev_i32_e32 v21, 31, v20
	v_add3_u32 v1, v8, v24, v1
	v_sub_co_u32 v10, vcc_lo, v10, v7
	s_delay_alu instid0(VALU_DEP_4) | instskip(NEXT) | instid1(VALU_DEP_4)
	v_mul_lo_u32 v22, s18, v9
	v_mad_u64_u32 v[8:9], null, s18, v23, v[20:21]
	v_mul_lo_u32 v25, s19, v23
	v_sub_co_ci_u32_e32 v11, vcc_lo, v11, v1, vcc_lo
	v_ashrrev_i32_e32 v1, 31, v6
	s_delay_alu instid0(VALU_DEP_2) | instskip(NEXT) | instid1(VALU_DEP_2)
	v_mad_u64_u32 v[20:21], null, v6, s14, v[10:11]
	v_mul_lo_u32 v1, v1, s14
	v_add3_u32 v9, v25, v9, v22
	s_delay_alu instid0(VALU_DEP_1) | instskip(NEXT) | instid1(VALU_DEP_4)
	v_lshlrev_b64 v[6:7], 3, v[8:9]
	v_mul_lo_u32 v9, s7, v20
	s_delay_alu instid0(VALU_DEP_4) | instskip(SKIP_3) | instid1(VALU_DEP_4)
	v_add3_u32 v1, v1, v21, v24
	v_add_nc_u32_e32 v8, s45, v19
	v_mul_lo_u32 v19, s18, v23
	v_mad_u64_u32 v[10:11], null, s6, v20, v[6:7]
	v_mul_lo_u32 v6, s6, v1
	s_delay_alu instid0(VALU_DEP_4) | instskip(NEXT) | instid1(VALU_DEP_1)
	v_min_i32_e32 v1, s18, v8
	v_cmp_lt_i32_e32 vcc_lo, v3, v1
	s_delay_alu instid0(VALU_DEP_3) | instskip(SKIP_3) | instid1(VALU_DEP_4)
	v_add3_u32 v7, v9, v11, v6
	v_add_co_u32 v6, s0, s12, v10
	v_mov_b32_e32 v8, 0
	v_mov_b32_e32 v9, 0xfff00000
	v_add_co_ci_u32_e64 v7, s0, s13, v7, s0
	s_set_inst_prefetch_distance 0x1
	s_branch .LBB2_11
	.p2align	6
.LBB2_10:                               ;   in Loop: Header=BB2_11 Depth=2
	s_or_b32 exec_lo, exec_lo, s37
	v_add_nc_u32_e32 v17, s26, v17
	v_add_co_u32 v6, s1, v6, s30
	s_delay_alu instid0(VALU_DEP_1) | instskip(NEXT) | instid1(VALU_DEP_3)
	v_add_co_ci_u32_e64 v7, s1, s31, v7, s1
	v_cmp_ge_i32_e64 s0, v17, v18
	v_add_nc_u32_e32 v19, s28, v19
	s_delay_alu instid0(VALU_DEP_2) | instskip(NEXT) | instid1(SALU_CYCLE_1)
	s_or_b32 s29, s0, s29
	s_and_not1_b32 exec_lo, exec_lo, s29
	s_cbranch_execz .LBB2_2
.LBB2_11:                               ;   Parent Loop BB2_4 Depth=1
                                        ; =>  This Loop Header: Depth=2
                                        ;       Child Loop BB2_13 Depth 3
	s_and_saveexec_b32 s37, vcc_lo
	s_cbranch_execz .LBB2_10
; %bb.12:                               ;   in Loop: Header=BB2_11 Depth=2
	v_dual_mov_b32 v11, v7 :: v_dual_mov_b32 v10, v6
	v_mov_b32_e32 v20, v3
	s_mov_b32 s48, 0
	.p2align	6
.LBB2_13:                               ;   Parent Loop BB2_4 Depth=1
                                        ;     Parent Loop BB2_11 Depth=2
                                        ; =>    This Inner Loop Header: Depth=3
	global_load_b64 v[21:22], v[10:11], off
	v_add_nc_u32_e32 v23, v19, v20
	v_add_nc_u32_e32 v20, s27, v20
	v_add_co_u32 v10, s2, v10, s34
	s_delay_alu instid0(VALU_DEP_1) | instskip(NEXT) | instid1(VALU_DEP_3)
	v_add_co_ci_u32_e64 v11, s2, s35, v11, s2
	v_cmp_ge_i32_e64 s2, v20, v1
	s_waitcnt vmcnt(0)
	v_cmp_gt_f64_e64 s0, v[21:22], v[8:9]
	v_cmp_u_f64_e64 s1, v[21:22], v[21:22]
	s_delay_alu instid0(VALU_DEP_1)
	s_or_b32 s0, s0, s1
	s_or_b32 s48, s2, s48
	v_cndmask_b32_e64 v9, v9, v22, s0
	v_cndmask_b32_e64 v8, v8, v21, s0
	;; [unrolled: 1-line block ×3, first 2 shown]
	s_and_not1_b32 exec_lo, exec_lo, s48
	s_cbranch_execnz .LBB2_13
; %bb.14:                               ;   in Loop: Header=BB2_11 Depth=2
	s_or_b32 exec_lo, exec_lo, s48
	s_branch .LBB2_10
.LBB2_15:
	s_nop 0
	s_sendmsg sendmsg(MSG_DEALLOC_VGPRS)
	s_endpgm
	.section	.rodata,"a",@progbits
	.p2align	6, 0x0
	.amdhsa_kernel _ZN2at6native12_GLOBAL__N_121max_pool_forward_nchwIdiEEvT0_PKT_llliiiiiiiiiiPS4_Pl
		.amdhsa_group_segment_fixed_size 0
		.amdhsa_private_segment_fixed_size 0
		.amdhsa_kernarg_size 352
		.amdhsa_user_sgpr_count 15
		.amdhsa_user_sgpr_dispatch_ptr 0
		.amdhsa_user_sgpr_queue_ptr 0
		.amdhsa_user_sgpr_kernarg_segment_ptr 1
		.amdhsa_user_sgpr_dispatch_id 0
		.amdhsa_user_sgpr_private_segment_size 0
		.amdhsa_wavefront_size32 1
		.amdhsa_uses_dynamic_stack 0
		.amdhsa_enable_private_segment 0
		.amdhsa_system_sgpr_workgroup_id_x 1
		.amdhsa_system_sgpr_workgroup_id_y 0
		.amdhsa_system_sgpr_workgroup_id_z 0
		.amdhsa_system_sgpr_workgroup_info 0
		.amdhsa_system_vgpr_workitem_id 0
		.amdhsa_next_free_vgpr 26
		.amdhsa_next_free_sgpr 49
		.amdhsa_reserve_vcc 1
		.amdhsa_float_round_mode_32 0
		.amdhsa_float_round_mode_16_64 0
		.amdhsa_float_denorm_mode_32 3
		.amdhsa_float_denorm_mode_16_64 3
		.amdhsa_dx10_clamp 1
		.amdhsa_ieee_mode 1
		.amdhsa_fp16_overflow 0
		.amdhsa_workgroup_processor_mode 1
		.amdhsa_memory_ordered 1
		.amdhsa_forward_progress 0
		.amdhsa_shared_vgpr_count 0
		.amdhsa_exception_fp_ieee_invalid_op 0
		.amdhsa_exception_fp_denorm_src 0
		.amdhsa_exception_fp_ieee_div_zero 0
		.amdhsa_exception_fp_ieee_overflow 0
		.amdhsa_exception_fp_ieee_underflow 0
		.amdhsa_exception_fp_ieee_inexact 0
		.amdhsa_exception_int_div_zero 0
	.end_amdhsa_kernel
	.section	.text._ZN2at6native12_GLOBAL__N_121max_pool_forward_nchwIdiEEvT0_PKT_llliiiiiiiiiiPS4_Pl,"axG",@progbits,_ZN2at6native12_GLOBAL__N_121max_pool_forward_nchwIdiEEvT0_PKT_llliiiiiiiiiiPS4_Pl,comdat
.Lfunc_end2:
	.size	_ZN2at6native12_GLOBAL__N_121max_pool_forward_nchwIdiEEvT0_PKT_llliiiiiiiiiiPS4_Pl, .Lfunc_end2-_ZN2at6native12_GLOBAL__N_121max_pool_forward_nchwIdiEEvT0_PKT_llliiiiiiiiiiPS4_Pl
                                        ; -- End function
	.section	.AMDGPU.csdata,"",@progbits
; Kernel info:
; codeLenInByte = 2640
; NumSgprs: 51
; NumVgprs: 26
; ScratchSize: 0
; MemoryBound: 0
; FloatMode: 240
; IeeeMode: 1
; LDSByteSize: 0 bytes/workgroup (compile time only)
; SGPRBlocks: 6
; VGPRBlocks: 3
; NumSGPRsForWavesPerEU: 51
; NumVGPRsForWavesPerEU: 26
; Occupancy: 16
; WaveLimiterHint : 0
; COMPUTE_PGM_RSRC2:SCRATCH_EN: 0
; COMPUTE_PGM_RSRC2:USER_SGPR: 15
; COMPUTE_PGM_RSRC2:TRAP_HANDLER: 0
; COMPUTE_PGM_RSRC2:TGID_X_EN: 1
; COMPUTE_PGM_RSRC2:TGID_Y_EN: 0
; COMPUTE_PGM_RSRC2:TGID_Z_EN: 0
; COMPUTE_PGM_RSRC2:TIDIG_COMP_CNT: 0
	.section	.text._ZN2at6native12_GLOBAL__N_121max_pool_forward_nchwIdlEEvT0_PKT_llliiiiiiiiiiPS4_Pl,"axG",@progbits,_ZN2at6native12_GLOBAL__N_121max_pool_forward_nchwIdlEEvT0_PKT_llliiiiiiiiiiPS4_Pl,comdat
	.globl	_ZN2at6native12_GLOBAL__N_121max_pool_forward_nchwIdlEEvT0_PKT_llliiiiiiiiiiPS4_Pl ; -- Begin function _ZN2at6native12_GLOBAL__N_121max_pool_forward_nchwIdlEEvT0_PKT_llliiiiiiiiiiPS4_Pl
	.p2align	8
	.type	_ZN2at6native12_GLOBAL__N_121max_pool_forward_nchwIdlEEvT0_PKT_llliiiiiiiiiiPS4_Pl,@function
_ZN2at6native12_GLOBAL__N_121max_pool_forward_nchwIdlEEvT0_PKT_llliiiiiiiiiiPS4_Pl: ; @_ZN2at6native12_GLOBAL__N_121max_pool_forward_nchwIdlEEvT0_PKT_llliiiiiiiiiiPS4_Pl
; %bb.0:
	s_clause 0x1
	s_load_b32 s4, s[0:1], 0x6c
	s_load_b128 s[16:19], s[0:1], 0x0
	v_mov_b32_e32 v2, 0
	s_add_u32 s2, s0, 0x60
	s_addc_u32 s3, s1, 0
	s_delay_alu instid0(VALU_DEP_1) | instskip(SKIP_3) | instid1(VALU_DEP_1)
	v_mov_b32_e32 v1, v2
	s_waitcnt lgkmcnt(0)
	s_and_b32 s26, s4, 0xffff
	s_mov_b32 s4, exec_lo
	v_mad_u64_u32 v[4:5], null, s26, s15, v[0:1]
	s_delay_alu instid0(VALU_DEP_1)
	v_cmpx_gt_i64_e64 s[16:17], v[4:5]
	s_cbranch_execz .LBB3_27
; %bb.1:
	s_clause 0x3
	s_load_b256 s[4:11], s[0:1], 0x28
	s_load_b64 s[24:25], s[0:1], 0x48
	s_load_b128 s[12:15], s[0:1], 0x18
	s_load_b128 s[20:23], s[0:1], 0x50
	s_load_b32 s0, s[2:3], 0x0
	s_mov_b32 s47, 0
	s_waitcnt lgkmcnt(0)
	v_cvt_f32_u32_e32 v0, s5
	s_add_i32 s1, s6, -1
	s_add_i32 s2, s7, -1
	s_ashr_i32 s7, s24, 31
	s_mov_b32 s6, s24
	v_rcp_iflag_f32_e32 v0, v0
	s_ashr_i32 s33, s8, 31
	s_mov_b32 s34, s8
	s_ashr_i32 s37, s9, 31
	s_mov_b32 s38, s9
	;; [unrolled: 2-line block ×3, first 2 shown]
	s_mul_i32 s41, s1, s24
	v_cmp_gt_u64_e64 s1, s[6:7], 1
	s_mul_i32 s42, s2, s25
	v_cmp_gt_u64_e64 s2, s[8:9], 1
	s_ashr_i32 s30, s5, 31
	s_ashr_i32 s31, s4, 31
	;; [unrolled: 1-line block ×4, first 2 shown]
	s_add_i32 s41, s41, 1
	s_add_i32 s42, s42, 1
	s_and_b32 s1, s1, exec_lo
	s_waitcnt_depctr 0xfff
	v_mul_f32_e32 v0, 0x4f7ffffe, v0
	s_cselect_b32 s43, s7, 0
	s_cselect_b32 s44, s24, 1
	s_and_b32 s1, s2, exec_lo
	s_mul_i32 s1, s14, s13
	s_mul_hi_u32 s2, s14, s12
	s_cselect_b32 s45, s9, 0
	s_cselect_b32 s13, s25, 1
	s_add_i32 s1, s2, s1
	s_mul_i32 s2, s15, s12
	v_cvt_u32_f32_e32 v20, v0
	s_mul_i32 s46, s0, s26
	s_add_i32 s1, s1, s2
	s_mul_i32 s0, s14, s12
	s_mov_b32 s36, s10
	s_mov_b32 s40, s11
	s_lshl_b64 s[10:11], s[0:1], 3
	s_lshl_b64 s[26:27], s[8:9], 3
	s_branch .LBB3_4
.LBB3_2:                                ;   in Loop: Header=BB3_4 Depth=1
	s_or_b32 exec_lo, exec_lo, s28
.LBB3_3:                                ;   in Loop: Header=BB3_4 Depth=1
	s_delay_alu instid0(SALU_CYCLE_1) | instskip(SKIP_3) | instid1(VALU_DEP_3)
	s_or_b32 exec_lo, exec_lo, s3
	v_lshlrev_b64 v[0:1], 3, v[4:5]
	v_add_co_u32 v4, vcc_lo, v4, s46
	v_add_co_ci_u32_e32 v5, vcc_lo, 0, v5, vcc_lo
	v_add_co_u32 v9, vcc_lo, s20, v0
	s_delay_alu instid0(VALU_DEP_4) | instskip(NEXT) | instid1(VALU_DEP_3)
	v_add_co_ci_u32_e32 v10, vcc_lo, s21, v1, vcc_lo
	v_cmp_le_i64_e32 vcc_lo, s[16:17], v[4:5]
	v_add_co_u32 v0, s0, s22, v0
	s_delay_alu instid0(VALU_DEP_1) | instskip(SKIP_3) | instid1(SALU_CYCLE_1)
	v_add_co_ci_u32_e64 v1, s0, s23, v1, s0
	global_store_b64 v[9:10], v[14:15], off
	global_store_b64 v[0:1], v[7:8], off
	s_or_b32 s47, vcc_lo, s47
	s_and_not1_b32 exec_lo, exec_lo, s47
	s_cbranch_execz .LBB3_27
.LBB3_4:                                ; =>This Loop Header: Depth=1
                                        ;     Child Loop BB3_23 Depth 2
                                        ;       Child Loop BB3_25 Depth 3
	v_or_b32_e32 v3, s30, v5
                                        ; implicit-def: $vgpr6_vgpr7
	s_mov_b32 s0, exec_lo
	s_delay_alu instid0(VALU_DEP_1)
	v_cmpx_ne_u64_e32 0, v[2:3]
	s_xor_b32 s1, exec_lo, s0
	s_cbranch_execz .LBB3_6
; %bb.5:                                ;   in Loop: Header=BB3_4 Depth=1
	s_add_u32 s28, s5, s30
	s_mov_b32 s2, s30
	s_mov_b32 s3, s30
	s_addc_u32 s29, s30, s30
	s_delay_alu instid0(SALU_CYCLE_1) | instskip(NEXT) | instid1(SALU_CYCLE_1)
	s_xor_b64 s[28:29], s[28:29], s[2:3]
	v_cvt_f32_u32_e32 v0, s28
	v_cvt_f32_u32_e32 v1, s29
	s_sub_u32 s0, 0, s28
	s_subb_u32 s48, 0, s29
	s_delay_alu instid0(VALU_DEP_1) | instskip(NEXT) | instid1(VALU_DEP_1)
	v_fmac_f32_e32 v0, 0x4f800000, v1
	v_rcp_f32_e32 v0, v0
	s_waitcnt_depctr 0xfff
	v_mul_f32_e32 v0, 0x5f7ffffc, v0
	s_delay_alu instid0(VALU_DEP_1) | instskip(NEXT) | instid1(VALU_DEP_1)
	v_mul_f32_e32 v1, 0x2f800000, v0
	v_trunc_f32_e32 v1, v1
	s_delay_alu instid0(VALU_DEP_1) | instskip(SKIP_1) | instid1(VALU_DEP_2)
	v_fmac_f32_e32 v0, 0xcf800000, v1
	v_cvt_u32_f32_e32 v1, v1
	v_cvt_u32_f32_e32 v0, v0
	s_delay_alu instid0(VALU_DEP_2) | instskip(NEXT) | instid1(VALU_DEP_2)
	v_mul_lo_u32 v3, s0, v1
	v_mul_hi_u32 v6, s0, v0
	v_mul_lo_u32 v7, s48, v0
	s_delay_alu instid0(VALU_DEP_2) | instskip(SKIP_1) | instid1(VALU_DEP_2)
	v_add_nc_u32_e32 v3, v6, v3
	v_mul_lo_u32 v6, s0, v0
	v_add_nc_u32_e32 v3, v3, v7
	s_delay_alu instid0(VALU_DEP_2) | instskip(NEXT) | instid1(VALU_DEP_2)
	v_mul_hi_u32 v7, v0, v6
	v_mul_lo_u32 v8, v0, v3
	v_mul_hi_u32 v9, v0, v3
	v_mul_hi_u32 v10, v1, v6
	v_mul_lo_u32 v6, v1, v6
	v_mul_hi_u32 v11, v1, v3
	v_mul_lo_u32 v3, v1, v3
	v_add_co_u32 v7, vcc_lo, v7, v8
	v_add_co_ci_u32_e32 v8, vcc_lo, 0, v9, vcc_lo
	s_delay_alu instid0(VALU_DEP_2) | instskip(NEXT) | instid1(VALU_DEP_2)
	v_add_co_u32 v6, vcc_lo, v7, v6
	v_add_co_ci_u32_e32 v6, vcc_lo, v8, v10, vcc_lo
	v_add_co_ci_u32_e32 v7, vcc_lo, 0, v11, vcc_lo
	v_ashrrev_i32_e32 v10, 31, v5
	s_delay_alu instid0(VALU_DEP_3) | instskip(NEXT) | instid1(VALU_DEP_3)
	v_add_co_u32 v3, vcc_lo, v6, v3
	v_add_co_ci_u32_e32 v6, vcc_lo, 0, v7, vcc_lo
	s_delay_alu instid0(VALU_DEP_2) | instskip(NEXT) | instid1(VALU_DEP_2)
	v_add_co_u32 v0, vcc_lo, v0, v3
	v_add_co_ci_u32_e32 v1, vcc_lo, v1, v6, vcc_lo
	s_delay_alu instid0(VALU_DEP_2) | instskip(SKIP_1) | instid1(VALU_DEP_3)
	v_mul_hi_u32 v3, s0, v0
	v_mul_lo_u32 v7, s48, v0
	v_mul_lo_u32 v6, s0, v1
	s_delay_alu instid0(VALU_DEP_1) | instskip(SKIP_1) | instid1(VALU_DEP_2)
	v_add_nc_u32_e32 v3, v3, v6
	v_mul_lo_u32 v6, s0, v0
	v_add_nc_u32_e32 v3, v3, v7
	s_delay_alu instid0(VALU_DEP_2) | instskip(NEXT) | instid1(VALU_DEP_2)
	v_mul_hi_u32 v7, v0, v6
	v_mul_lo_u32 v8, v0, v3
	v_mul_hi_u32 v9, v0, v3
	v_mul_hi_u32 v11, v1, v6
	v_mul_lo_u32 v6, v1, v6
	v_mul_hi_u32 v12, v1, v3
	v_mul_lo_u32 v3, v1, v3
	v_add_co_u32 v7, vcc_lo, v7, v8
	v_add_co_ci_u32_e32 v8, vcc_lo, 0, v9, vcc_lo
	s_delay_alu instid0(VALU_DEP_2) | instskip(NEXT) | instid1(VALU_DEP_2)
	v_add_co_u32 v6, vcc_lo, v7, v6
	v_add_co_ci_u32_e32 v6, vcc_lo, v8, v11, vcc_lo
	v_add_co_ci_u32_e32 v7, vcc_lo, 0, v12, vcc_lo
	v_add_co_u32 v8, vcc_lo, v4, v10
	v_add_co_ci_u32_e32 v9, vcc_lo, v5, v10, vcc_lo
	s_delay_alu instid0(VALU_DEP_4) | instskip(NEXT) | instid1(VALU_DEP_4)
	v_add_co_u32 v3, vcc_lo, v6, v3
	v_add_co_ci_u32_e32 v6, vcc_lo, 0, v7, vcc_lo
	s_delay_alu instid0(VALU_DEP_4) | instskip(NEXT) | instid1(VALU_DEP_3)
	v_xor_b32_e32 v11, v8, v10
	v_add_co_u32 v3, vcc_lo, v0, v3
	s_delay_alu instid0(VALU_DEP_3) | instskip(SKIP_1) | instid1(VALU_DEP_3)
	v_add_co_ci_u32_e32 v12, vcc_lo, v1, v6, vcc_lo
	v_xor_b32_e32 v13, v9, v10
	v_mul_hi_u32 v14, v11, v3
	s_delay_alu instid0(VALU_DEP_3) | instskip(NEXT) | instid1(VALU_DEP_3)
	v_mad_u64_u32 v[0:1], null, v11, v12, 0
	v_mad_u64_u32 v[6:7], null, v13, v3, 0
	;; [unrolled: 1-line block ×3, first 2 shown]
	s_delay_alu instid0(VALU_DEP_3) | instskip(NEXT) | instid1(VALU_DEP_4)
	v_add_co_u32 v0, vcc_lo, v14, v0
	v_add_co_ci_u32_e32 v1, vcc_lo, 0, v1, vcc_lo
	s_delay_alu instid0(VALU_DEP_2) | instskip(NEXT) | instid1(VALU_DEP_2)
	v_add_co_u32 v0, vcc_lo, v0, v6
	v_add_co_ci_u32_e32 v0, vcc_lo, v1, v7, vcc_lo
	v_add_co_ci_u32_e32 v1, vcc_lo, 0, v9, vcc_lo
	s_delay_alu instid0(VALU_DEP_2) | instskip(NEXT) | instid1(VALU_DEP_2)
	v_add_co_u32 v3, vcc_lo, v0, v8
	v_add_co_ci_u32_e32 v6, vcc_lo, 0, v1, vcc_lo
	s_delay_alu instid0(VALU_DEP_2) | instskip(SKIP_1) | instid1(VALU_DEP_3)
	v_mul_lo_u32 v7, s29, v3
	v_mad_u64_u32 v[0:1], null, s28, v3, 0
	v_mul_lo_u32 v8, s28, v6
	s_delay_alu instid0(VALU_DEP_2) | instskip(NEXT) | instid1(VALU_DEP_2)
	v_sub_co_u32 v0, vcc_lo, v11, v0
	v_add3_u32 v1, v1, v8, v7
	s_delay_alu instid0(VALU_DEP_1) | instskip(NEXT) | instid1(VALU_DEP_1)
	v_sub_nc_u32_e32 v7, v13, v1
	v_subrev_co_ci_u32_e64 v7, s0, s29, v7, vcc_lo
	v_add_co_u32 v8, s0, v3, 2
	s_delay_alu instid0(VALU_DEP_1) | instskip(SKIP_3) | instid1(VALU_DEP_3)
	v_add_co_ci_u32_e64 v9, s0, 0, v6, s0
	v_sub_co_u32 v11, s0, v0, s28
	v_sub_co_ci_u32_e32 v1, vcc_lo, v13, v1, vcc_lo
	v_subrev_co_ci_u32_e64 v7, s0, 0, v7, s0
	v_cmp_le_u32_e32 vcc_lo, s28, v11
	s_delay_alu instid0(VALU_DEP_3) | instskip(SKIP_1) | instid1(VALU_DEP_4)
	v_cmp_eq_u32_e64 s0, s29, v1
	v_cndmask_b32_e64 v11, 0, -1, vcc_lo
	v_cmp_le_u32_e32 vcc_lo, s29, v7
	v_cndmask_b32_e64 v12, 0, -1, vcc_lo
	v_cmp_le_u32_e32 vcc_lo, s28, v0
	;; [unrolled: 2-line block ×3, first 2 shown]
	v_cndmask_b32_e64 v13, 0, -1, vcc_lo
	v_cmp_eq_u32_e32 vcc_lo, s29, v7
	s_delay_alu instid0(VALU_DEP_2) | instskip(SKIP_3) | instid1(VALU_DEP_3)
	v_cndmask_b32_e64 v0, v13, v0, s0
	v_cndmask_b32_e32 v7, v12, v11, vcc_lo
	v_add_co_u32 v11, vcc_lo, v3, 1
	v_add_co_ci_u32_e32 v12, vcc_lo, 0, v6, vcc_lo
	v_cmp_ne_u32_e32 vcc_lo, 0, v7
	s_delay_alu instid0(VALU_DEP_2) | instskip(NEXT) | instid1(VALU_DEP_4)
	v_cndmask_b32_e32 v1, v12, v9, vcc_lo
	v_cndmask_b32_e32 v7, v11, v8, vcc_lo
	v_cmp_ne_u32_e32 vcc_lo, 0, v0
	v_xor_b32_e32 v0, s2, v10
	s_delay_alu instid0(VALU_DEP_3) | instskip(SKIP_2) | instid1(VALU_DEP_3)
	v_cndmask_b32_e32 v3, v3, v7, vcc_lo
	v_cndmask_b32_e32 v1, v6, v1, vcc_lo
	v_xor_b32_e32 v7, s3, v10
	v_xor_b32_e32 v3, v3, v0
	s_delay_alu instid0(VALU_DEP_2) | instskip(NEXT) | instid1(VALU_DEP_2)
	v_xor_b32_e32 v1, v1, v7
	v_sub_co_u32 v6, vcc_lo, v3, v0
	s_delay_alu instid0(VALU_DEP_2)
	v_sub_co_ci_u32_e32 v7, vcc_lo, v1, v7, vcc_lo
.LBB3_6:                                ;   in Loop: Header=BB3_4 Depth=1
	s_and_not1_saveexec_b32 s0, s1
	s_cbranch_execz .LBB3_8
; %bb.7:                                ;   in Loop: Header=BB3_4 Depth=1
	s_sub_i32 s1, 0, s5
	v_mov_b32_e32 v7, v2
	v_mul_lo_u32 v0, s1, v20
	s_delay_alu instid0(VALU_DEP_1) | instskip(NEXT) | instid1(VALU_DEP_1)
	v_mul_hi_u32 v0, v20, v0
	v_add_nc_u32_e32 v0, v20, v0
	s_delay_alu instid0(VALU_DEP_1) | instskip(NEXT) | instid1(VALU_DEP_1)
	v_mul_hi_u32 v0, v4, v0
	v_mul_lo_u32 v1, v0, s5
	v_add_nc_u32_e32 v3, 1, v0
	s_delay_alu instid0(VALU_DEP_2) | instskip(NEXT) | instid1(VALU_DEP_1)
	v_sub_nc_u32_e32 v1, v4, v1
	v_subrev_nc_u32_e32 v6, s5, v1
	v_cmp_le_u32_e32 vcc_lo, s5, v1
	s_delay_alu instid0(VALU_DEP_2) | instskip(NEXT) | instid1(VALU_DEP_1)
	v_dual_cndmask_b32 v1, v1, v6 :: v_dual_cndmask_b32 v0, v0, v3
	v_cmp_le_u32_e32 vcc_lo, s5, v1
	s_delay_alu instid0(VALU_DEP_2) | instskip(NEXT) | instid1(VALU_DEP_1)
	v_add_nc_u32_e32 v3, 1, v0
	v_cndmask_b32_e32 v6, v0, v3, vcc_lo
.LBB3_8:                                ;   in Loop: Header=BB3_4 Depth=1
	s_or_b32 exec_lo, exec_lo, s0
	s_delay_alu instid0(VALU_DEP_1) | instskip(SKIP_1) | instid1(VALU_DEP_1)
	v_or_b32_e32 v3, s31, v7
                                        ; implicit-def: $vgpr0_vgpr1
	s_mov_b32 s0, exec_lo
	v_cmpx_ne_u64_e32 0, v[2:3]
	s_xor_b32 s1, exec_lo, s0
	s_cbranch_execz .LBB3_10
; %bb.9:                                ;   in Loop: Header=BB3_4 Depth=1
	s_add_u32 s28, s4, s31
	s_mov_b32 s2, s31
	s_mov_b32 s3, s31
	s_addc_u32 s29, s31, s31
	s_delay_alu instid0(SALU_CYCLE_1) | instskip(NEXT) | instid1(SALU_CYCLE_1)
	s_xor_b64 s[28:29], s[28:29], s[2:3]
	v_cvt_f32_u32_e32 v0, s28
	v_cvt_f32_u32_e32 v1, s29
	s_sub_u32 s0, 0, s28
	s_subb_u32 s48, 0, s29
	s_delay_alu instid0(VALU_DEP_1) | instskip(NEXT) | instid1(VALU_DEP_1)
	v_fmac_f32_e32 v0, 0x4f800000, v1
	v_rcp_f32_e32 v0, v0
	s_waitcnt_depctr 0xfff
	v_mul_f32_e32 v0, 0x5f7ffffc, v0
	s_delay_alu instid0(VALU_DEP_1) | instskip(NEXT) | instid1(VALU_DEP_1)
	v_mul_f32_e32 v1, 0x2f800000, v0
	v_trunc_f32_e32 v1, v1
	s_delay_alu instid0(VALU_DEP_1) | instskip(SKIP_1) | instid1(VALU_DEP_2)
	v_fmac_f32_e32 v0, 0xcf800000, v1
	v_cvt_u32_f32_e32 v1, v1
	v_cvt_u32_f32_e32 v0, v0
	s_delay_alu instid0(VALU_DEP_2) | instskip(NEXT) | instid1(VALU_DEP_2)
	v_mul_lo_u32 v3, s0, v1
	v_mul_hi_u32 v8, s0, v0
	v_mul_lo_u32 v9, s48, v0
	s_delay_alu instid0(VALU_DEP_2) | instskip(SKIP_1) | instid1(VALU_DEP_2)
	v_add_nc_u32_e32 v3, v8, v3
	v_mul_lo_u32 v8, s0, v0
	v_add_nc_u32_e32 v3, v3, v9
	s_delay_alu instid0(VALU_DEP_2) | instskip(NEXT) | instid1(VALU_DEP_2)
	v_mul_hi_u32 v9, v0, v8
	v_mul_lo_u32 v10, v0, v3
	v_mul_hi_u32 v11, v0, v3
	v_mul_hi_u32 v12, v1, v8
	v_mul_lo_u32 v8, v1, v8
	v_mul_hi_u32 v13, v1, v3
	v_mul_lo_u32 v3, v1, v3
	v_add_co_u32 v9, vcc_lo, v9, v10
	v_add_co_ci_u32_e32 v10, vcc_lo, 0, v11, vcc_lo
	s_delay_alu instid0(VALU_DEP_2) | instskip(NEXT) | instid1(VALU_DEP_2)
	v_add_co_u32 v8, vcc_lo, v9, v8
	v_add_co_ci_u32_e32 v8, vcc_lo, v10, v12, vcc_lo
	v_add_co_ci_u32_e32 v9, vcc_lo, 0, v13, vcc_lo
	v_ashrrev_i32_e32 v12, 31, v7
	s_delay_alu instid0(VALU_DEP_3) | instskip(NEXT) | instid1(VALU_DEP_3)
	v_add_co_u32 v3, vcc_lo, v8, v3
	v_add_co_ci_u32_e32 v8, vcc_lo, 0, v9, vcc_lo
	s_delay_alu instid0(VALU_DEP_2) | instskip(NEXT) | instid1(VALU_DEP_2)
	v_add_co_u32 v0, vcc_lo, v0, v3
	v_add_co_ci_u32_e32 v1, vcc_lo, v1, v8, vcc_lo
	s_delay_alu instid0(VALU_DEP_2) | instskip(SKIP_1) | instid1(VALU_DEP_3)
	v_mul_hi_u32 v3, s0, v0
	v_mul_lo_u32 v9, s48, v0
	v_mul_lo_u32 v8, s0, v1
	s_delay_alu instid0(VALU_DEP_1) | instskip(SKIP_1) | instid1(VALU_DEP_2)
	v_add_nc_u32_e32 v3, v3, v8
	v_mul_lo_u32 v8, s0, v0
	v_add_nc_u32_e32 v3, v3, v9
	s_delay_alu instid0(VALU_DEP_2) | instskip(NEXT) | instid1(VALU_DEP_2)
	v_mul_hi_u32 v9, v0, v8
	v_mul_lo_u32 v10, v0, v3
	v_mul_hi_u32 v11, v0, v3
	v_mul_hi_u32 v13, v1, v8
	v_mul_lo_u32 v8, v1, v8
	v_mul_hi_u32 v14, v1, v3
	v_mul_lo_u32 v3, v1, v3
	v_add_co_u32 v9, vcc_lo, v9, v10
	v_add_co_ci_u32_e32 v10, vcc_lo, 0, v11, vcc_lo
	s_delay_alu instid0(VALU_DEP_2) | instskip(NEXT) | instid1(VALU_DEP_2)
	v_add_co_u32 v8, vcc_lo, v9, v8
	v_add_co_ci_u32_e32 v8, vcc_lo, v10, v13, vcc_lo
	v_add_co_ci_u32_e32 v9, vcc_lo, 0, v14, vcc_lo
	v_add_co_u32 v10, vcc_lo, v6, v12
	v_add_co_ci_u32_e32 v11, vcc_lo, v7, v12, vcc_lo
	s_delay_alu instid0(VALU_DEP_4) | instskip(NEXT) | instid1(VALU_DEP_4)
	v_add_co_u32 v3, vcc_lo, v8, v3
	v_add_co_ci_u32_e32 v8, vcc_lo, 0, v9, vcc_lo
	s_delay_alu instid0(VALU_DEP_4) | instskip(NEXT) | instid1(VALU_DEP_3)
	v_xor_b32_e32 v13, v10, v12
	v_add_co_u32 v3, vcc_lo, v0, v3
	s_delay_alu instid0(VALU_DEP_3) | instskip(SKIP_1) | instid1(VALU_DEP_3)
	v_add_co_ci_u32_e32 v14, vcc_lo, v1, v8, vcc_lo
	v_xor_b32_e32 v15, v11, v12
	v_mul_hi_u32 v16, v13, v3
	s_delay_alu instid0(VALU_DEP_3) | instskip(NEXT) | instid1(VALU_DEP_3)
	v_mad_u64_u32 v[0:1], null, v13, v14, 0
	v_mad_u64_u32 v[8:9], null, v15, v3, 0
	;; [unrolled: 1-line block ×3, first 2 shown]
	s_delay_alu instid0(VALU_DEP_3) | instskip(NEXT) | instid1(VALU_DEP_4)
	v_add_co_u32 v0, vcc_lo, v16, v0
	v_add_co_ci_u32_e32 v1, vcc_lo, 0, v1, vcc_lo
	s_delay_alu instid0(VALU_DEP_2) | instskip(NEXT) | instid1(VALU_DEP_2)
	v_add_co_u32 v0, vcc_lo, v0, v8
	v_add_co_ci_u32_e32 v0, vcc_lo, v1, v9, vcc_lo
	v_add_co_ci_u32_e32 v1, vcc_lo, 0, v11, vcc_lo
	s_delay_alu instid0(VALU_DEP_2) | instskip(NEXT) | instid1(VALU_DEP_2)
	v_add_co_u32 v3, vcc_lo, v0, v10
	v_add_co_ci_u32_e32 v8, vcc_lo, 0, v1, vcc_lo
	s_delay_alu instid0(VALU_DEP_2) | instskip(SKIP_1) | instid1(VALU_DEP_3)
	v_mul_lo_u32 v9, s29, v3
	v_mad_u64_u32 v[0:1], null, s28, v3, 0
	v_mul_lo_u32 v10, s28, v8
	s_delay_alu instid0(VALU_DEP_2) | instskip(NEXT) | instid1(VALU_DEP_2)
	v_sub_co_u32 v0, vcc_lo, v13, v0
	v_add3_u32 v1, v1, v10, v9
	s_delay_alu instid0(VALU_DEP_1) | instskip(NEXT) | instid1(VALU_DEP_1)
	v_sub_nc_u32_e32 v9, v15, v1
	v_subrev_co_ci_u32_e64 v9, s0, s29, v9, vcc_lo
	v_add_co_u32 v10, s0, v3, 2
	s_delay_alu instid0(VALU_DEP_1) | instskip(SKIP_3) | instid1(VALU_DEP_3)
	v_add_co_ci_u32_e64 v11, s0, 0, v8, s0
	v_sub_co_u32 v13, s0, v0, s28
	v_sub_co_ci_u32_e32 v1, vcc_lo, v15, v1, vcc_lo
	v_subrev_co_ci_u32_e64 v9, s0, 0, v9, s0
	v_cmp_le_u32_e32 vcc_lo, s28, v13
	s_delay_alu instid0(VALU_DEP_3) | instskip(SKIP_1) | instid1(VALU_DEP_4)
	v_cmp_eq_u32_e64 s0, s29, v1
	v_cndmask_b32_e64 v13, 0, -1, vcc_lo
	v_cmp_le_u32_e32 vcc_lo, s29, v9
	v_cndmask_b32_e64 v14, 0, -1, vcc_lo
	v_cmp_le_u32_e32 vcc_lo, s28, v0
	;; [unrolled: 2-line block ×3, first 2 shown]
	v_cndmask_b32_e64 v15, 0, -1, vcc_lo
	v_cmp_eq_u32_e32 vcc_lo, s29, v9
	s_delay_alu instid0(VALU_DEP_2) | instskip(SKIP_3) | instid1(VALU_DEP_3)
	v_cndmask_b32_e64 v0, v15, v0, s0
	v_cndmask_b32_e32 v9, v14, v13, vcc_lo
	v_add_co_u32 v13, vcc_lo, v3, 1
	v_add_co_ci_u32_e32 v14, vcc_lo, 0, v8, vcc_lo
	v_cmp_ne_u32_e32 vcc_lo, 0, v9
	s_delay_alu instid0(VALU_DEP_2) | instskip(NEXT) | instid1(VALU_DEP_4)
	v_cndmask_b32_e32 v1, v14, v11, vcc_lo
	v_cndmask_b32_e32 v9, v13, v10, vcc_lo
	v_cmp_ne_u32_e32 vcc_lo, 0, v0
	v_xor_b32_e32 v0, s2, v12
	s_delay_alu instid0(VALU_DEP_3) | instskip(SKIP_2) | instid1(VALU_DEP_3)
	v_cndmask_b32_e32 v3, v3, v9, vcc_lo
	v_cndmask_b32_e32 v1, v8, v1, vcc_lo
	v_xor_b32_e32 v8, s3, v12
	v_xor_b32_e32 v3, v3, v0
	s_delay_alu instid0(VALU_DEP_2) | instskip(NEXT) | instid1(VALU_DEP_2)
	v_xor_b32_e32 v1, v1, v8
	v_sub_co_u32 v0, vcc_lo, v3, v0
	s_delay_alu instid0(VALU_DEP_2)
	v_sub_co_ci_u32_e32 v1, vcc_lo, v1, v8, vcc_lo
.LBB3_10:                               ;   in Loop: Header=BB3_4 Depth=1
	s_and_not1_saveexec_b32 s0, s1
	s_cbranch_execz .LBB3_12
; %bb.11:                               ;   in Loop: Header=BB3_4 Depth=1
	v_cvt_f32_u32_e32 v0, s4
	s_sub_i32 s1, 0, s4
	s_delay_alu instid0(VALU_DEP_1) | instskip(SKIP_2) | instid1(VALU_DEP_1)
	v_rcp_iflag_f32_e32 v0, v0
	s_waitcnt_depctr 0xfff
	v_mul_f32_e32 v0, 0x4f7ffffe, v0
	v_cvt_u32_f32_e32 v0, v0
	s_delay_alu instid0(VALU_DEP_1) | instskip(NEXT) | instid1(VALU_DEP_1)
	v_mul_lo_u32 v1, s1, v0
	v_mul_hi_u32 v1, v0, v1
	s_delay_alu instid0(VALU_DEP_1) | instskip(NEXT) | instid1(VALU_DEP_1)
	v_add_nc_u32_e32 v0, v0, v1
	v_mul_hi_u32 v0, v6, v0
	s_delay_alu instid0(VALU_DEP_1) | instskip(SKIP_1) | instid1(VALU_DEP_2)
	v_mul_lo_u32 v1, v0, s4
	v_add_nc_u32_e32 v3, 1, v0
	v_sub_nc_u32_e32 v1, v6, v1
	s_delay_alu instid0(VALU_DEP_1) | instskip(SKIP_1) | instid1(VALU_DEP_2)
	v_subrev_nc_u32_e32 v8, s4, v1
	v_cmp_le_u32_e32 vcc_lo, s4, v1
	v_dual_cndmask_b32 v1, v1, v8 :: v_dual_cndmask_b32 v0, v0, v3
	s_delay_alu instid0(VALU_DEP_1) | instskip(NEXT) | instid1(VALU_DEP_2)
	v_cmp_le_u32_e32 vcc_lo, s4, v1
	v_add_nc_u32_e32 v3, 1, v0
	s_delay_alu instid0(VALU_DEP_1)
	v_dual_mov_b32 v1, v2 :: v_dual_cndmask_b32 v0, v0, v3
.LBB3_12:                               ;   in Loop: Header=BB3_4 Depth=1
	s_or_b32 exec_lo, exec_lo, s0
	s_delay_alu instid0(VALU_DEP_1) | instskip(NEXT) | instid1(VALU_DEP_2)
	v_mul_lo_u32 v3, v1, s4
	v_mul_lo_u32 v10, v0, s31
	v_mad_u64_u32 v[8:9], null, v0, s4, 0
	s_mov_b32 s0, exec_lo
	s_delay_alu instid0(VALU_DEP_1) | instskip(NEXT) | instid1(VALU_DEP_2)
	v_add3_u32 v3, v9, v10, v3
	v_sub_co_u32 v8, vcc_lo, v6, v8
	s_delay_alu instid0(VALU_DEP_2) | instskip(NEXT) | instid1(VALU_DEP_2)
	v_sub_co_ci_u32_e32 v3, vcc_lo, v7, v3, vcc_lo
	v_mul_lo_u32 v9, v8, s33
	v_mad_u64_u32 v[10:11], null, v8, s34, 0
	s_delay_alu instid0(VALU_DEP_3) | instskip(NEXT) | instid1(VALU_DEP_2)
	v_mul_lo_u32 v3, v3, s34
	v_sub_co_u32 v8, vcc_lo, v10, s36
	s_delay_alu instid0(VALU_DEP_2) | instskip(NEXT) | instid1(VALU_DEP_1)
	v_add3_u32 v11, v11, v9, v3
	v_subrev_co_ci_u32_e32 v9, vcc_lo, s35, v11, vcc_lo
	s_delay_alu instid0(VALU_DEP_1) | instskip(SKIP_1) | instid1(VALU_DEP_1)
	v_cmp_lt_i64_e32 vcc_lo, 0, v[8:9]
	v_dual_cndmask_b32 v3, 0, v9 :: v_dual_cndmask_b32 v12, 0, v8
	v_add_co_u32 v12, vcc_lo, v12, s36
	s_delay_alu instid0(VALU_DEP_2) | instskip(NEXT) | instid1(VALU_DEP_1)
	v_add_co_ci_u32_e32 v13, vcc_lo, s35, v3, vcc_lo
	v_cmp_ne_u64_e32 vcc_lo, v[12:13], v[10:11]
	v_cndmask_b32_e64 v14, 0, 1, vcc_lo
	s_delay_alu instid0(VALU_DEP_1) | instskip(SKIP_1) | instid1(VALU_DEP_2)
	v_add_co_u32 v3, vcc_lo, v10, v14
	v_add_co_ci_u32_e32 v10, vcc_lo, 0, v11, vcc_lo
	v_sub_co_u32 v12, vcc_lo, v12, v3
	s_delay_alu instid0(VALU_DEP_2) | instskip(NEXT) | instid1(VALU_DEP_1)
	v_sub_co_ci_u32_e32 v13, vcc_lo, v13, v10, vcc_lo
                                        ; implicit-def: $vgpr10_vgpr11
	v_or_b32_e32 v3, s43, v13
	s_delay_alu instid0(VALU_DEP_1)
	v_cmpx_ne_u64_e32 0, v[2:3]
	s_xor_b32 s1, exec_lo, s0
	s_cbranch_execz .LBB3_14
; %bb.13:                               ;   in Loop: Header=BB3_4 Depth=1
	v_cvt_f32_u32_e32 v3, s44
	v_cvt_f32_u32_e32 v10, s43
	s_sub_u32 s0, 0, s44
	s_subb_u32 s2, 0, s43
	s_delay_alu instid0(VALU_DEP_1) | instskip(NEXT) | instid1(VALU_DEP_1)
	v_fmac_f32_e32 v3, 0x4f800000, v10
	v_rcp_f32_e32 v3, v3
	s_waitcnt_depctr 0xfff
	v_mul_f32_e32 v3, 0x5f7ffffc, v3
	s_delay_alu instid0(VALU_DEP_1) | instskip(NEXT) | instid1(VALU_DEP_1)
	v_mul_f32_e32 v10, 0x2f800000, v3
	v_trunc_f32_e32 v10, v10
	s_delay_alu instid0(VALU_DEP_1) | instskip(SKIP_1) | instid1(VALU_DEP_2)
	v_fmac_f32_e32 v3, 0xcf800000, v10
	v_cvt_u32_f32_e32 v10, v10
	v_cvt_u32_f32_e32 v3, v3
	s_delay_alu instid0(VALU_DEP_2) | instskip(NEXT) | instid1(VALU_DEP_2)
	v_mul_lo_u32 v11, s0, v10
	v_mul_hi_u32 v15, s0, v3
	v_mul_lo_u32 v16, s2, v3
	s_delay_alu instid0(VALU_DEP_2) | instskip(SKIP_1) | instid1(VALU_DEP_2)
	v_add_nc_u32_e32 v11, v15, v11
	v_mul_lo_u32 v15, s0, v3
	v_add_nc_u32_e32 v11, v11, v16
	s_delay_alu instid0(VALU_DEP_2) | instskip(NEXT) | instid1(VALU_DEP_2)
	v_mul_hi_u32 v16, v3, v15
	v_mul_lo_u32 v17, v3, v11
	v_mul_hi_u32 v18, v3, v11
	v_mul_hi_u32 v19, v10, v15
	v_mul_lo_u32 v15, v10, v15
	v_mul_hi_u32 v21, v10, v11
	v_mul_lo_u32 v11, v10, v11
	v_add_co_u32 v16, vcc_lo, v16, v17
	v_add_co_ci_u32_e32 v17, vcc_lo, 0, v18, vcc_lo
	s_delay_alu instid0(VALU_DEP_2) | instskip(NEXT) | instid1(VALU_DEP_2)
	v_add_co_u32 v15, vcc_lo, v16, v15
	v_add_co_ci_u32_e32 v15, vcc_lo, v17, v19, vcc_lo
	v_add_co_ci_u32_e32 v16, vcc_lo, 0, v21, vcc_lo
	s_delay_alu instid0(VALU_DEP_2) | instskip(NEXT) | instid1(VALU_DEP_2)
	v_add_co_u32 v11, vcc_lo, v15, v11
	v_add_co_ci_u32_e32 v15, vcc_lo, 0, v16, vcc_lo
	s_delay_alu instid0(VALU_DEP_2) | instskip(NEXT) | instid1(VALU_DEP_2)
	v_add_co_u32 v3, vcc_lo, v3, v11
	v_add_co_ci_u32_e32 v10, vcc_lo, v10, v15, vcc_lo
	s_delay_alu instid0(VALU_DEP_2) | instskip(SKIP_1) | instid1(VALU_DEP_3)
	v_mul_hi_u32 v11, s0, v3
	v_mul_lo_u32 v16, s2, v3
	v_mul_lo_u32 v15, s0, v10
	s_delay_alu instid0(VALU_DEP_1) | instskip(SKIP_1) | instid1(VALU_DEP_2)
	v_add_nc_u32_e32 v11, v11, v15
	v_mul_lo_u32 v15, s0, v3
	v_add_nc_u32_e32 v11, v11, v16
	s_delay_alu instid0(VALU_DEP_2) | instskip(NEXT) | instid1(VALU_DEP_2)
	v_mul_hi_u32 v16, v3, v15
	v_mul_lo_u32 v17, v3, v11
	v_mul_hi_u32 v18, v3, v11
	v_mul_hi_u32 v19, v10, v15
	v_mul_lo_u32 v15, v10, v15
	v_mul_hi_u32 v21, v10, v11
	v_mul_lo_u32 v11, v10, v11
	v_add_co_u32 v16, vcc_lo, v16, v17
	v_add_co_ci_u32_e32 v17, vcc_lo, 0, v18, vcc_lo
	s_delay_alu instid0(VALU_DEP_2) | instskip(NEXT) | instid1(VALU_DEP_2)
	v_add_co_u32 v15, vcc_lo, v16, v15
	v_add_co_ci_u32_e32 v15, vcc_lo, v17, v19, vcc_lo
	v_add_co_ci_u32_e32 v16, vcc_lo, 0, v21, vcc_lo
	s_delay_alu instid0(VALU_DEP_2) | instskip(NEXT) | instid1(VALU_DEP_2)
	v_add_co_u32 v11, vcc_lo, v15, v11
	v_add_co_ci_u32_e32 v15, vcc_lo, 0, v16, vcc_lo
	s_delay_alu instid0(VALU_DEP_2) | instskip(NEXT) | instid1(VALU_DEP_2)
	v_add_co_u32 v3, vcc_lo, v3, v11
	v_add_co_ci_u32_e32 v19, vcc_lo, v10, v15, vcc_lo
	s_delay_alu instid0(VALU_DEP_2) | instskip(SKIP_1) | instid1(VALU_DEP_3)
	v_mul_hi_u32 v21, v12, v3
	v_mad_u64_u32 v[15:16], null, v13, v3, 0
	v_mad_u64_u32 v[10:11], null, v12, v19, 0
	;; [unrolled: 1-line block ×3, first 2 shown]
	s_delay_alu instid0(VALU_DEP_2) | instskip(NEXT) | instid1(VALU_DEP_3)
	v_add_co_u32 v3, vcc_lo, v21, v10
	v_add_co_ci_u32_e32 v10, vcc_lo, 0, v11, vcc_lo
	s_delay_alu instid0(VALU_DEP_2) | instskip(NEXT) | instid1(VALU_DEP_2)
	v_add_co_u32 v3, vcc_lo, v3, v15
	v_add_co_ci_u32_e32 v3, vcc_lo, v10, v16, vcc_lo
	v_add_co_ci_u32_e32 v10, vcc_lo, 0, v18, vcc_lo
	s_delay_alu instid0(VALU_DEP_2) | instskip(NEXT) | instid1(VALU_DEP_2)
	v_add_co_u32 v3, vcc_lo, v3, v17
	v_add_co_ci_u32_e32 v15, vcc_lo, 0, v10, vcc_lo
	s_delay_alu instid0(VALU_DEP_2) | instskip(SKIP_1) | instid1(VALU_DEP_3)
	v_mul_lo_u32 v16, s43, v3
	v_mad_u64_u32 v[10:11], null, s44, v3, 0
	v_mul_lo_u32 v17, s44, v15
	s_delay_alu instid0(VALU_DEP_2) | instskip(NEXT) | instid1(VALU_DEP_2)
	v_sub_co_u32 v10, vcc_lo, v12, v10
	v_add3_u32 v11, v11, v17, v16
	s_delay_alu instid0(VALU_DEP_1) | instskip(NEXT) | instid1(VALU_DEP_1)
	v_sub_nc_u32_e32 v16, v13, v11
	v_subrev_co_ci_u32_e64 v12, s0, s43, v16, vcc_lo
	v_add_co_u32 v16, s0, v3, 2
	s_delay_alu instid0(VALU_DEP_1) | instskip(SKIP_3) | instid1(VALU_DEP_3)
	v_add_co_ci_u32_e64 v17, s0, 0, v15, s0
	v_sub_co_u32 v18, s0, v10, s44
	v_sub_co_ci_u32_e32 v11, vcc_lo, v13, v11, vcc_lo
	v_subrev_co_ci_u32_e64 v12, s0, 0, v12, s0
	v_cmp_le_u32_e32 vcc_lo, s44, v18
	s_delay_alu instid0(VALU_DEP_3) | instskip(SKIP_1) | instid1(VALU_DEP_4)
	v_cmp_eq_u32_e64 s0, s43, v11
	v_cndmask_b32_e64 v13, 0, -1, vcc_lo
	v_cmp_le_u32_e32 vcc_lo, s43, v12
	v_cndmask_b32_e64 v18, 0, -1, vcc_lo
	v_cmp_le_u32_e32 vcc_lo, s44, v10
	;; [unrolled: 2-line block ×3, first 2 shown]
	v_cndmask_b32_e64 v19, 0, -1, vcc_lo
	v_cmp_eq_u32_e32 vcc_lo, s43, v12
	s_delay_alu instid0(VALU_DEP_2) | instskip(SKIP_3) | instid1(VALU_DEP_3)
	v_cndmask_b32_e64 v10, v19, v10, s0
	v_cndmask_b32_e32 v12, v18, v13, vcc_lo
	v_add_co_u32 v13, vcc_lo, v3, 1
	v_add_co_ci_u32_e32 v18, vcc_lo, 0, v15, vcc_lo
	v_cmp_ne_u32_e32 vcc_lo, 0, v12
	s_delay_alu instid0(VALU_DEP_2) | instskip(SKIP_1) | instid1(VALU_DEP_2)
	v_dual_cndmask_b32 v12, v13, v16 :: v_dual_cndmask_b32 v11, v18, v17
	v_cmp_ne_u32_e32 vcc_lo, 0, v10
	v_cndmask_b32_e32 v10, v3, v12, vcc_lo
	s_delay_alu instid0(VALU_DEP_3)
	v_cndmask_b32_e32 v11, v15, v11, vcc_lo
                                        ; implicit-def: $vgpr12
.LBB3_14:                               ;   in Loop: Header=BB3_4 Depth=1
	s_and_not1_saveexec_b32 s0, s1
	s_cbranch_execz .LBB3_16
; %bb.15:                               ;   in Loop: Header=BB3_4 Depth=1
	v_cvt_f32_u32_e32 v3, s44
	s_sub_i32 s1, 0, s44
	s_delay_alu instid0(VALU_DEP_1) | instskip(SKIP_2) | instid1(VALU_DEP_1)
	v_rcp_iflag_f32_e32 v3, v3
	s_waitcnt_depctr 0xfff
	v_mul_f32_e32 v3, 0x4f7ffffe, v3
	v_cvt_u32_f32_e32 v3, v3
	s_delay_alu instid0(VALU_DEP_1) | instskip(NEXT) | instid1(VALU_DEP_1)
	v_mul_lo_u32 v10, s1, v3
	v_mul_hi_u32 v10, v3, v10
	s_delay_alu instid0(VALU_DEP_1) | instskip(NEXT) | instid1(VALU_DEP_1)
	v_add_nc_u32_e32 v3, v3, v10
	v_mul_hi_u32 v3, v12, v3
	s_delay_alu instid0(VALU_DEP_1) | instskip(SKIP_1) | instid1(VALU_DEP_2)
	v_mul_lo_u32 v10, v3, s44
	v_add_nc_u32_e32 v11, 1, v3
	v_sub_nc_u32_e32 v10, v12, v10
	s_delay_alu instid0(VALU_DEP_1) | instskip(SKIP_1) | instid1(VALU_DEP_2)
	v_subrev_nc_u32_e32 v12, s44, v10
	v_cmp_le_u32_e32 vcc_lo, s44, v10
	v_dual_cndmask_b32 v10, v10, v12 :: v_dual_cndmask_b32 v3, v3, v11
	s_delay_alu instid0(VALU_DEP_1) | instskip(NEXT) | instid1(VALU_DEP_2)
	v_cmp_le_u32_e32 vcc_lo, s44, v10
	v_add_nc_u32_e32 v11, 1, v3
	s_delay_alu instid0(VALU_DEP_1)
	v_dual_cndmask_b32 v10, v3, v11 :: v_dual_mov_b32 v11, v2
.LBB3_16:                               ;   in Loop: Header=BB3_4 Depth=1
	s_or_b32 exec_lo, exec_lo, s0
	v_mul_lo_u32 v3, v7, s5
	v_mul_lo_u32 v7, v6, s30
	v_mad_u64_u32 v[12:13], null, v6, s5, 0
	s_mov_b32 s0, exec_lo
	s_delay_alu instid0(VALU_DEP_1) | instskip(NEXT) | instid1(VALU_DEP_2)
	v_add3_u32 v3, v13, v7, v3
	v_sub_co_u32 v6, vcc_lo, v4, v12
	s_delay_alu instid0(VALU_DEP_2) | instskip(NEXT) | instid1(VALU_DEP_2)
	v_sub_co_ci_u32_e32 v3, vcc_lo, v5, v3, vcc_lo
	v_mul_lo_u32 v7, v6, s37
	v_mad_u64_u32 v[12:13], null, v6, s38, 0
	s_delay_alu instid0(VALU_DEP_3) | instskip(NEXT) | instid1(VALU_DEP_2)
	v_mul_lo_u32 v3, v3, s38
	v_sub_co_u32 v6, vcc_lo, v12, s40
	s_delay_alu instid0(VALU_DEP_2) | instskip(NEXT) | instid1(VALU_DEP_1)
	v_add3_u32 v13, v13, v7, v3
	v_subrev_co_ci_u32_e32 v7, vcc_lo, s39, v13, vcc_lo
	s_delay_alu instid0(VALU_DEP_1) | instskip(SKIP_2) | instid1(VALU_DEP_2)
	v_cmp_lt_i64_e32 vcc_lo, 0, v[6:7]
	v_cndmask_b32_e32 v15, 0, v6, vcc_lo
	v_cndmask_b32_e32 v3, 0, v7, vcc_lo
	v_add_co_u32 v16, vcc_lo, v15, s40
	s_delay_alu instid0(VALU_DEP_2) | instskip(NEXT) | instid1(VALU_DEP_1)
	v_add_co_ci_u32_e32 v17, vcc_lo, s39, v3, vcc_lo
	v_cmp_ne_u64_e32 vcc_lo, v[16:17], v[12:13]
	v_cndmask_b32_e64 v15, 0, 1, vcc_lo
	s_delay_alu instid0(VALU_DEP_1) | instskip(SKIP_1) | instid1(VALU_DEP_2)
	v_add_co_u32 v3, vcc_lo, v12, v15
	v_add_co_ci_u32_e32 v12, vcc_lo, 0, v13, vcc_lo
	v_sub_co_u32 v16, vcc_lo, v16, v3
	s_delay_alu instid0(VALU_DEP_2) | instskip(NEXT) | instid1(VALU_DEP_1)
	v_sub_co_ci_u32_e32 v17, vcc_lo, v17, v12, vcc_lo
                                        ; implicit-def: $vgpr12_vgpr13
	v_or_b32_e32 v3, s45, v17
	s_delay_alu instid0(VALU_DEP_1)
	v_cmpx_ne_u64_e32 0, v[2:3]
	s_xor_b32 s1, exec_lo, s0
	s_cbranch_execz .LBB3_18
; %bb.17:                               ;   in Loop: Header=BB3_4 Depth=1
	v_cvt_f32_u32_e32 v3, s13
	v_cvt_f32_u32_e32 v12, s45
	s_sub_u32 s0, 0, s13
	s_subb_u32 s2, 0, s45
	s_delay_alu instid0(VALU_DEP_1) | instskip(NEXT) | instid1(VALU_DEP_1)
	v_fmac_f32_e32 v3, 0x4f800000, v12
	v_rcp_f32_e32 v3, v3
	s_waitcnt_depctr 0xfff
	v_mul_f32_e32 v3, 0x5f7ffffc, v3
	s_delay_alu instid0(VALU_DEP_1) | instskip(NEXT) | instid1(VALU_DEP_1)
	v_mul_f32_e32 v12, 0x2f800000, v3
	v_trunc_f32_e32 v12, v12
	s_delay_alu instid0(VALU_DEP_1) | instskip(SKIP_1) | instid1(VALU_DEP_2)
	v_fmac_f32_e32 v3, 0xcf800000, v12
	v_cvt_u32_f32_e32 v12, v12
	v_cvt_u32_f32_e32 v3, v3
	s_delay_alu instid0(VALU_DEP_2) | instskip(NEXT) | instid1(VALU_DEP_2)
	v_mul_lo_u32 v13, s0, v12
	v_mul_hi_u32 v18, s0, v3
	v_mul_lo_u32 v19, s2, v3
	s_delay_alu instid0(VALU_DEP_2) | instskip(SKIP_1) | instid1(VALU_DEP_2)
	v_add_nc_u32_e32 v13, v18, v13
	v_mul_lo_u32 v18, s0, v3
	v_add_nc_u32_e32 v13, v13, v19
	s_delay_alu instid0(VALU_DEP_2) | instskip(NEXT) | instid1(VALU_DEP_2)
	v_mul_hi_u32 v19, v3, v18
	v_mul_lo_u32 v21, v3, v13
	v_mul_hi_u32 v22, v3, v13
	v_mul_hi_u32 v23, v12, v18
	v_mul_lo_u32 v18, v12, v18
	v_mul_hi_u32 v24, v12, v13
	v_mul_lo_u32 v13, v12, v13
	v_add_co_u32 v19, vcc_lo, v19, v21
	v_add_co_ci_u32_e32 v21, vcc_lo, 0, v22, vcc_lo
	s_delay_alu instid0(VALU_DEP_2) | instskip(NEXT) | instid1(VALU_DEP_2)
	v_add_co_u32 v18, vcc_lo, v19, v18
	v_add_co_ci_u32_e32 v18, vcc_lo, v21, v23, vcc_lo
	v_add_co_ci_u32_e32 v19, vcc_lo, 0, v24, vcc_lo
	s_delay_alu instid0(VALU_DEP_2) | instskip(NEXT) | instid1(VALU_DEP_2)
	v_add_co_u32 v13, vcc_lo, v18, v13
	v_add_co_ci_u32_e32 v18, vcc_lo, 0, v19, vcc_lo
	s_delay_alu instid0(VALU_DEP_2) | instskip(NEXT) | instid1(VALU_DEP_2)
	v_add_co_u32 v3, vcc_lo, v3, v13
	v_add_co_ci_u32_e32 v12, vcc_lo, v12, v18, vcc_lo
	s_delay_alu instid0(VALU_DEP_2) | instskip(SKIP_1) | instid1(VALU_DEP_3)
	v_mul_hi_u32 v13, s0, v3
	v_mul_lo_u32 v19, s2, v3
	v_mul_lo_u32 v18, s0, v12
	s_delay_alu instid0(VALU_DEP_1) | instskip(SKIP_1) | instid1(VALU_DEP_2)
	v_add_nc_u32_e32 v13, v13, v18
	v_mul_lo_u32 v18, s0, v3
	v_add_nc_u32_e32 v13, v13, v19
	s_delay_alu instid0(VALU_DEP_2) | instskip(NEXT) | instid1(VALU_DEP_2)
	v_mul_hi_u32 v19, v3, v18
	v_mul_lo_u32 v21, v3, v13
	v_mul_hi_u32 v22, v3, v13
	v_mul_hi_u32 v23, v12, v18
	v_mul_lo_u32 v18, v12, v18
	v_mul_hi_u32 v24, v12, v13
	v_mul_lo_u32 v13, v12, v13
	v_add_co_u32 v19, vcc_lo, v19, v21
	v_add_co_ci_u32_e32 v21, vcc_lo, 0, v22, vcc_lo
	s_delay_alu instid0(VALU_DEP_2) | instskip(NEXT) | instid1(VALU_DEP_2)
	v_add_co_u32 v18, vcc_lo, v19, v18
	v_add_co_ci_u32_e32 v18, vcc_lo, v21, v23, vcc_lo
	v_add_co_ci_u32_e32 v19, vcc_lo, 0, v24, vcc_lo
	s_delay_alu instid0(VALU_DEP_2) | instskip(NEXT) | instid1(VALU_DEP_2)
	v_add_co_u32 v13, vcc_lo, v18, v13
	v_add_co_ci_u32_e32 v18, vcc_lo, 0, v19, vcc_lo
	s_delay_alu instid0(VALU_DEP_2) | instskip(NEXT) | instid1(VALU_DEP_2)
	v_add_co_u32 v3, vcc_lo, v3, v13
	v_add_co_ci_u32_e32 v23, vcc_lo, v12, v18, vcc_lo
	s_delay_alu instid0(VALU_DEP_2) | instskip(SKIP_1) | instid1(VALU_DEP_3)
	v_mul_hi_u32 v24, v16, v3
	v_mad_u64_u32 v[18:19], null, v17, v3, 0
	v_mad_u64_u32 v[12:13], null, v16, v23, 0
	;; [unrolled: 1-line block ×3, first 2 shown]
	s_delay_alu instid0(VALU_DEP_2) | instskip(NEXT) | instid1(VALU_DEP_3)
	v_add_co_u32 v3, vcc_lo, v24, v12
	v_add_co_ci_u32_e32 v12, vcc_lo, 0, v13, vcc_lo
	s_delay_alu instid0(VALU_DEP_2) | instskip(NEXT) | instid1(VALU_DEP_2)
	v_add_co_u32 v3, vcc_lo, v3, v18
	v_add_co_ci_u32_e32 v3, vcc_lo, v12, v19, vcc_lo
	v_add_co_ci_u32_e32 v12, vcc_lo, 0, v22, vcc_lo
	s_delay_alu instid0(VALU_DEP_2) | instskip(NEXT) | instid1(VALU_DEP_2)
	v_add_co_u32 v3, vcc_lo, v3, v21
	v_add_co_ci_u32_e32 v18, vcc_lo, 0, v12, vcc_lo
	s_delay_alu instid0(VALU_DEP_2) | instskip(SKIP_1) | instid1(VALU_DEP_3)
	v_mul_lo_u32 v19, s45, v3
	v_mad_u64_u32 v[12:13], null, s13, v3, 0
	v_mul_lo_u32 v21, s13, v18
	s_delay_alu instid0(VALU_DEP_2) | instskip(NEXT) | instid1(VALU_DEP_2)
	v_sub_co_u32 v12, vcc_lo, v16, v12
	v_add3_u32 v13, v13, v21, v19
	s_delay_alu instid0(VALU_DEP_1) | instskip(NEXT) | instid1(VALU_DEP_1)
	v_sub_nc_u32_e32 v19, v17, v13
	v_subrev_co_ci_u32_e64 v16, s0, s45, v19, vcc_lo
	v_add_co_u32 v19, s0, v3, 2
	s_delay_alu instid0(VALU_DEP_1) | instskip(SKIP_3) | instid1(VALU_DEP_3)
	v_add_co_ci_u32_e64 v21, s0, 0, v18, s0
	v_sub_co_u32 v22, s0, v12, s13
	v_sub_co_ci_u32_e32 v13, vcc_lo, v17, v13, vcc_lo
	v_subrev_co_ci_u32_e64 v16, s0, 0, v16, s0
	v_cmp_le_u32_e32 vcc_lo, s13, v22
	s_delay_alu instid0(VALU_DEP_3) | instskip(SKIP_1) | instid1(VALU_DEP_4)
	v_cmp_eq_u32_e64 s0, s45, v13
	v_cndmask_b32_e64 v17, 0, -1, vcc_lo
	v_cmp_le_u32_e32 vcc_lo, s45, v16
	v_cndmask_b32_e64 v22, 0, -1, vcc_lo
	v_cmp_le_u32_e32 vcc_lo, s13, v12
	;; [unrolled: 2-line block ×3, first 2 shown]
	v_cndmask_b32_e64 v23, 0, -1, vcc_lo
	v_cmp_eq_u32_e32 vcc_lo, s45, v16
	s_delay_alu instid0(VALU_DEP_2) | instskip(SKIP_3) | instid1(VALU_DEP_3)
	v_cndmask_b32_e64 v12, v23, v12, s0
	v_cndmask_b32_e32 v16, v22, v17, vcc_lo
	v_add_co_u32 v17, vcc_lo, v3, 1
	v_add_co_ci_u32_e32 v22, vcc_lo, 0, v18, vcc_lo
	v_cmp_ne_u32_e32 vcc_lo, 0, v16
	s_delay_alu instid0(VALU_DEP_2) | instskip(SKIP_1) | instid1(VALU_DEP_2)
	v_dual_cndmask_b32 v13, v22, v21 :: v_dual_cndmask_b32 v16, v17, v19
	v_cmp_ne_u32_e32 vcc_lo, 0, v12
	v_dual_cndmask_b32 v12, v3, v16 :: v_dual_cndmask_b32 v13, v18, v13
                                        ; implicit-def: $vgpr16
.LBB3_18:                               ;   in Loop: Header=BB3_4 Depth=1
	s_and_not1_saveexec_b32 s0, s1
	s_cbranch_execz .LBB3_20
; %bb.19:                               ;   in Loop: Header=BB3_4 Depth=1
	v_cvt_f32_u32_e32 v3, s13
	s_sub_i32 s1, 0, s13
	s_delay_alu instid0(VALU_DEP_1) | instskip(SKIP_2) | instid1(VALU_DEP_1)
	v_rcp_iflag_f32_e32 v3, v3
	s_waitcnt_depctr 0xfff
	v_mul_f32_e32 v3, 0x4f7ffffe, v3
	v_cvt_u32_f32_e32 v3, v3
	s_delay_alu instid0(VALU_DEP_1) | instskip(NEXT) | instid1(VALU_DEP_1)
	v_mul_lo_u32 v12, s1, v3
	v_mul_hi_u32 v12, v3, v12
	s_delay_alu instid0(VALU_DEP_1) | instskip(NEXT) | instid1(VALU_DEP_1)
	v_add_nc_u32_e32 v3, v3, v12
	v_mul_hi_u32 v3, v16, v3
	s_delay_alu instid0(VALU_DEP_1) | instskip(SKIP_1) | instid1(VALU_DEP_2)
	v_mul_lo_u32 v12, v3, s13
	v_add_nc_u32_e32 v13, 1, v3
	v_sub_nc_u32_e32 v12, v16, v12
	s_delay_alu instid0(VALU_DEP_1) | instskip(SKIP_1) | instid1(VALU_DEP_2)
	v_subrev_nc_u32_e32 v16, s13, v12
	v_cmp_le_u32_e32 vcc_lo, s13, v12
	v_dual_cndmask_b32 v12, v12, v16 :: v_dual_cndmask_b32 v3, v3, v13
	s_delay_alu instid0(VALU_DEP_1) | instskip(NEXT) | instid1(VALU_DEP_2)
	v_cmp_le_u32_e32 vcc_lo, s13, v12
	v_add_nc_u32_e32 v13, 1, v3
	s_delay_alu instid0(VALU_DEP_1)
	v_dual_cndmask_b32 v12, v3, v13 :: v_dual_mov_b32 v13, v2
.LBB3_20:                               ;   in Loop: Header=BB3_4 Depth=1
	s_or_b32 exec_lo, exec_lo, s0
	v_add_co_u32 v3, vcc_lo, v10, v14
	v_add_co_ci_u32_e32 v10, vcc_lo, 0, v11, vcc_lo
	s_delay_alu instid0(VALU_DEP_3) | instskip(SKIP_1) | instid1(VALU_DEP_4)
	v_add_co_u32 v15, vcc_lo, v12, v15
	v_add_co_ci_u32_e32 v12, vcc_lo, 0, v13, vcc_lo
	v_mul_lo_u32 v14, v3, s7
	s_delay_alu instid0(VALU_DEP_4)
	v_mul_lo_u32 v16, v10, s6
	v_mad_u64_u32 v[10:11], null, v3, s6, v[8:9]
	v_mul_lo_u32 v3, v15, s9
	v_mul_lo_u32 v9, v12, s8
	v_mad_u64_u32 v[12:13], null, v15, s8, v[6:7]
	s_mov_b32 s3, exec_lo
	s_delay_alu instid0(VALU_DEP_4)
	v_add3_u32 v7, v16, v11, v14
	v_mul_lo_u32 v11, v10, s15
	v_mov_b32_e32 v14, 0
	v_mov_b32_e32 v15, 0xfff00000
	v_add3_u32 v13, v9, v13, v3
	v_add_nc_u32_e32 v3, s41, v8
	v_mul_lo_u32 v9, v7, s14
	s_delay_alu instid0(VALU_DEP_3) | instskip(NEXT) | instid1(VALU_DEP_3)
	v_mad_u64_u32 v[7:8], null, v10, s14, v[12:13]
	v_min_i32_e32 v3, s12, v3
	s_delay_alu instid0(VALU_DEP_2) | instskip(NEXT) | instid1(VALU_DEP_2)
	v_add3_u32 v8, v9, v8, v11
	v_cmpx_gt_i32_e64 v3, v10
	s_cbranch_execz .LBB3_3
; %bb.21:                               ;   in Loop: Header=BB3_4 Depth=1
	v_add_nc_u32_e32 v6, s42, v6
	v_mad_u64_u32 v[16:17], null, s10, v0, s[18:19]
	v_mul_lo_u32 v1, s10, v1
	v_mul_lo_u32 v9, s11, v0
	v_mov_b32_e32 v14, 0
	v_mov_b32_e32 v15, 0xfff00000
	v_min_i32_e32 v6, s14, v6
	v_ashrrev_i32_e32 v0, 31, v10
	s_mov_b32 s28, 0
	s_delay_alu instid0(VALU_DEP_2)
	v_cmp_gt_i32_e32 vcc_lo, v6, v12
	v_add3_u32 v17, v9, v17, v1
	s_branch .LBB3_23
.LBB3_22:                               ;   in Loop: Header=BB3_23 Depth=2
	s_or_b32 exec_lo, exec_lo, s29
	v_add_nc_u32_e32 v10, s24, v10
	s_delay_alu instid0(VALU_DEP_1) | instskip(SKIP_1) | instid1(VALU_DEP_2)
	v_cmp_ge_i32_e64 s0, v10, v3
	v_ashrrev_i32_e32 v0, 31, v10
	s_or_b32 s28, s0, s28
	s_delay_alu instid0(SALU_CYCLE_1)
	s_and_not1_b32 exec_lo, exec_lo, s28
	s_cbranch_execz .LBB3_2
.LBB3_23:                               ;   Parent Loop BB3_4 Depth=1
                                        ; =>  This Loop Header: Depth=2
                                        ;       Child Loop BB3_25 Depth 3
	s_and_saveexec_b32 s29, vcc_lo
	s_cbranch_execz .LBB3_22
; %bb.24:                               ;   in Loop: Header=BB3_23 Depth=2
	v_ashrrev_i32_e32 v13, 31, v12
	v_mul_lo_u32 v9, v10, s15
	v_mul_lo_u32 v11, v0, s14
	s_mov_b32 s48, 0
	s_delay_alu instid0(VALU_DEP_3) | instskip(NEXT) | instid1(VALU_DEP_1)
	v_mad_u64_u32 v[0:1], null, v10, s14, v[12:13]
	v_add3_u32 v1, v11, v1, v9
	v_mov_b32_e32 v9, v12
	s_delay_alu instid0(VALU_DEP_2) | instskip(NEXT) | instid1(VALU_DEP_1)
	v_lshlrev_b64 v[18:19], 3, v[0:1]
	v_add_co_u32 v18, s0, v16, v18
	s_delay_alu instid0(VALU_DEP_1)
	v_add_co_ci_u32_e64 v19, s0, v17, v19, s0
	.p2align	6
.LBB3_25:                               ;   Parent Loop BB3_4 Depth=1
                                        ;     Parent Loop BB3_23 Depth=2
                                        ; =>    This Inner Loop Header: Depth=3
	global_load_b64 v[21:22], v[18:19], off
	v_add_nc_u32_e32 v9, s25, v9
	v_add_co_u32 v18, s2, v18, s26
	s_delay_alu instid0(VALU_DEP_1) | instskip(NEXT) | instid1(VALU_DEP_3)
	v_add_co_ci_u32_e64 v19, s2, s27, v19, s2
	v_cmp_ge_i32_e64 s2, v9, v6
	s_waitcnt vmcnt(0)
	v_cmp_gt_f64_e64 s0, v[21:22], v[14:15]
	v_cmp_u_f64_e64 s1, v[21:22], v[21:22]
	s_delay_alu instid0(VALU_DEP_1)
	s_or_b32 s0, s0, s1
	s_or_b32 s48, s2, s48
	v_cndmask_b32_e64 v15, v15, v22, s0
	v_cndmask_b32_e64 v14, v14, v21, s0
	;; [unrolled: 1-line block ×4, first 2 shown]
	v_add_co_u32 v0, s0, v0, s8
	s_delay_alu instid0(VALU_DEP_1)
	v_add_co_ci_u32_e64 v1, s0, s9, v1, s0
	s_and_not1_b32 exec_lo, exec_lo, s48
	s_cbranch_execnz .LBB3_25
; %bb.26:                               ;   in Loop: Header=BB3_23 Depth=2
	s_or_b32 exec_lo, exec_lo, s48
	s_branch .LBB3_22
.LBB3_27:
	s_nop 0
	s_sendmsg sendmsg(MSG_DEALLOC_VGPRS)
	s_endpgm
	.section	.rodata,"a",@progbits
	.p2align	6, 0x0
	.amdhsa_kernel _ZN2at6native12_GLOBAL__N_121max_pool_forward_nchwIdlEEvT0_PKT_llliiiiiiiiiiPS4_Pl
		.amdhsa_group_segment_fixed_size 0
		.amdhsa_private_segment_fixed_size 0
		.amdhsa_kernarg_size 352
		.amdhsa_user_sgpr_count 15
		.amdhsa_user_sgpr_dispatch_ptr 0
		.amdhsa_user_sgpr_queue_ptr 0
		.amdhsa_user_sgpr_kernarg_segment_ptr 1
		.amdhsa_user_sgpr_dispatch_id 0
		.amdhsa_user_sgpr_private_segment_size 0
		.amdhsa_wavefront_size32 1
		.amdhsa_uses_dynamic_stack 0
		.amdhsa_enable_private_segment 0
		.amdhsa_system_sgpr_workgroup_id_x 1
		.amdhsa_system_sgpr_workgroup_id_y 0
		.amdhsa_system_sgpr_workgroup_id_z 0
		.amdhsa_system_sgpr_workgroup_info 0
		.amdhsa_system_vgpr_workitem_id 0
		.amdhsa_next_free_vgpr 25
		.amdhsa_next_free_sgpr 49
		.amdhsa_reserve_vcc 1
		.amdhsa_float_round_mode_32 0
		.amdhsa_float_round_mode_16_64 0
		.amdhsa_float_denorm_mode_32 3
		.amdhsa_float_denorm_mode_16_64 3
		.amdhsa_dx10_clamp 1
		.amdhsa_ieee_mode 1
		.amdhsa_fp16_overflow 0
		.amdhsa_workgroup_processor_mode 1
		.amdhsa_memory_ordered 1
		.amdhsa_forward_progress 0
		.amdhsa_shared_vgpr_count 0
		.amdhsa_exception_fp_ieee_invalid_op 0
		.amdhsa_exception_fp_denorm_src 0
		.amdhsa_exception_fp_ieee_div_zero 0
		.amdhsa_exception_fp_ieee_overflow 0
		.amdhsa_exception_fp_ieee_underflow 0
		.amdhsa_exception_fp_ieee_inexact 0
		.amdhsa_exception_int_div_zero 0
	.end_amdhsa_kernel
	.section	.text._ZN2at6native12_GLOBAL__N_121max_pool_forward_nchwIdlEEvT0_PKT_llliiiiiiiiiiPS4_Pl,"axG",@progbits,_ZN2at6native12_GLOBAL__N_121max_pool_forward_nchwIdlEEvT0_PKT_llliiiiiiiiiiPS4_Pl,comdat
.Lfunc_end3:
	.size	_ZN2at6native12_GLOBAL__N_121max_pool_forward_nchwIdlEEvT0_PKT_llliiiiiiiiiiPS4_Pl, .Lfunc_end3-_ZN2at6native12_GLOBAL__N_121max_pool_forward_nchwIdlEEvT0_PKT_llliiiiiiiiiiPS4_Pl
                                        ; -- End function
	.section	.AMDGPU.csdata,"",@progbits
; Kernel info:
; codeLenInByte = 5084
; NumSgprs: 51
; NumVgprs: 25
; ScratchSize: 0
; MemoryBound: 0
; FloatMode: 240
; IeeeMode: 1
; LDSByteSize: 0 bytes/workgroup (compile time only)
; SGPRBlocks: 6
; VGPRBlocks: 3
; NumSGPRsForWavesPerEU: 51
; NumVGPRsForWavesPerEU: 25
; Occupancy: 16
; WaveLimiterHint : 0
; COMPUTE_PGM_RSRC2:SCRATCH_EN: 0
; COMPUTE_PGM_RSRC2:USER_SGPR: 15
; COMPUTE_PGM_RSRC2:TRAP_HANDLER: 0
; COMPUTE_PGM_RSRC2:TGID_X_EN: 1
; COMPUTE_PGM_RSRC2:TGID_Y_EN: 0
; COMPUTE_PGM_RSRC2:TGID_Z_EN: 0
; COMPUTE_PGM_RSRC2:TIDIG_COMP_CNT: 0
	.section	.text._ZN2at6native12_GLOBAL__N_121max_pool_forward_nhwcIfiEEvPKT_iT0_S6_S6_S6_S6_iiiiiiiiS6_S6_S6_S6_iiPS3_Pl,"axG",@progbits,_ZN2at6native12_GLOBAL__N_121max_pool_forward_nhwcIfiEEvPKT_iT0_S6_S6_S6_S6_iiiiiiiiS6_S6_S6_S6_iiPS3_Pl,comdat
	.globl	_ZN2at6native12_GLOBAL__N_121max_pool_forward_nhwcIfiEEvPKT_iT0_S6_S6_S6_S6_iiiiiiiiS6_S6_S6_S6_iiPS3_Pl ; -- Begin function _ZN2at6native12_GLOBAL__N_121max_pool_forward_nhwcIfiEEvPKT_iT0_S6_S6_S6_S6_iiiiiiiiS6_S6_S6_S6_iiPS3_Pl
	.p2align	8
	.type	_ZN2at6native12_GLOBAL__N_121max_pool_forward_nhwcIfiEEvPKT_iT0_S6_S6_S6_S6_iiiiiiiiS6_S6_S6_S6_iiPS3_Pl,@function
_ZN2at6native12_GLOBAL__N_121max_pool_forward_nhwcIfiEEvPKT_iT0_S6_S6_S6_S6_iiiiiiiiS6_S6_S6_S6_iiPS3_Pl: ; @_ZN2at6native12_GLOBAL__N_121max_pool_forward_nhwcIfiEEvPKT_iT0_S6_S6_S6_S6_iiiiiiiiS6_S6_S6_S6_iiPS3_Pl
; %bb.0:
	s_clause 0x1
	s_load_b128 s[4:7], s[0:1], 0x6c
	s_load_b128 s[8:11], s[0:1], 0x48
	v_bfe_u32 v4, v0, 10, 10
	v_bfe_u32 v2, v0, 20, 10
	v_and_b32_e32 v3, 0x3ff, v0
	s_mov_b32 s3, exec_lo
	s_waitcnt lgkmcnt(0)
	s_lshr_b32 s33, s6, 16
	s_and_b32 s6, s6, 0xffff
	v_mad_u32_u24 v5, v2, s33, v4
	s_mul_i32 s35, s6, s11
	s_and_b32 s7, s7, 0xffff
	s_mul_i32 s2, s35, s33
	s_delay_alu instid0(SALU_CYCLE_1) | instskip(SKIP_1) | instid1(VALU_DEP_1)
	s_mul_i32 s2, s2, s7
	v_mad_u64_u32 v[0:1], null, v5, s6, v[3:4]
	v_cmpx_gt_u32_e64 s2, v0
	s_cbranch_execz .LBB4_3
; %bb.1:
	s_mul_i32 s12, s33, s6
	v_lshl_add_u32 v1, v0, 2, 0
	v_dual_mov_b32 v6, 0xff800000 :: v_dual_mov_b32 v7, 0
	s_mul_i32 s12, s12, s7
	s_lshl_b32 s16, s2, 2
	s_mov_b32 s17, 0
	s_lshl_b32 s18, s12, 2
.LBB4_2:                                ; =>This Inner Loop Header: Depth=1
	v_add_nc_u32_e32 v0, s12, v0
	v_add_nc_u32_e32 v8, s16, v1
	ds_store_b32 v1, v7
	v_add_nc_u32_e32 v1, s18, v1
	v_cmp_le_u32_e32 vcc_lo, s2, v0
	ds_store_b32 v8, v6
	s_or_b32 s17, vcc_lo, s17
	s_delay_alu instid0(SALU_CYCLE_1)
	s_and_not1_b32 exec_lo, exec_lo, s17
	s_cbranch_execnz .LBB4_2
.LBB4_3:
	s_or_b32 exec_lo, exec_lo, s3
	v_cvt_f32_u32_e32 v0, s5
	s_load_b512 s[16:31], s[0:1], 0x8
	s_sub_i32 s12, 0, s5
	s_waitcnt lgkmcnt(0)
	s_barrier
	v_rcp_iflag_f32_e32 v0, v0
	buffer_gl0_inv
	v_mul_f32_e32 v0, 0x4f7ffffe, v0
	s_delay_alu instid0(VALU_DEP_1) | instskip(SKIP_1) | instid1(SALU_CYCLE_1)
	v_cvt_u32_f32_e32 v0, v0
	s_add_i32 s34, s20, s5
	s_add_i32 s34, s34, -1
	s_delay_alu instid0(VALU_DEP_1) | instskip(SKIP_1) | instid1(VALU_DEP_2)
	v_readfirstlane_b32 s3, v0
	v_cvt_f32_u32_e32 v0, s16
	s_mul_i32 s12, s12, s3
	s_delay_alu instid0(VALU_DEP_1) | instskip(SKIP_3) | instid1(SALU_CYCLE_1)
	v_rcp_iflag_f32_e32 v6, v0
	s_mul_hi_u32 s12, s3, s12
	v_cvt_f32_u32_e32 v0, s4
	s_add_i32 s3, s3, s12
	s_mul_hi_u32 s3, s34, s3
	s_delay_alu instid0(VALU_DEP_1) | instskip(SKIP_1) | instid1(SALU_CYCLE_1)
	v_rcp_iflag_f32_e32 v7, v0
	s_mul_i32 s12, s3, s5
	s_sub_i32 s12, s34, s12
	s_add_i32 s34, s3, 1
	s_sub_i32 s36, s12, s5
	s_cmp_ge_u32 s12, s5
	s_cselect_b32 s3, s34, s3
	s_cselect_b32 s12, s36, s12
	s_add_i32 s34, s3, 1
	s_cmp_ge_u32 s12, s5
	s_mov_b32 s12, exec_lo
	s_cselect_b32 s3, s34, s3
	s_mov_b32 s34, 0
	v_mad_u64_u32 v[0:1], null, s3, s15, v[2:3]
	s_waitcnt_depctr 0xfff
	v_dual_mul_f32 v1, 0x4f7ffffe, v6 :: v_dual_mul_f32 v2, 0x4f7ffffe, v7
	s_delay_alu instid0(VALU_DEP_1) | instskip(SKIP_1) | instid1(VALU_DEP_3)
	v_cvt_u32_f32_e32 v1, v1
	v_add_nc_u32_e32 v6, s3, v0
	v_cvt_u32_f32_e32 v2, v2
	s_delay_alu instid0(VALU_DEP_3) | instskip(NEXT) | instid1(VALU_DEP_3)
	v_readfirstlane_b32 s5, v1
	v_min_i32_e32 v15, s20, v6
	s_delay_alu instid0(VALU_DEP_3) | instskip(NEXT) | instid1(VALU_DEP_2)
	v_readfirstlane_b32 s3, v2
	v_cmpx_lt_i32_e64 v0, v15
	s_cbranch_execz .LBB4_74
; %bb.4:
	s_sub_i32 s12, 0, s16
	s_sub_i32 s36, 0, s4
	s_mul_i32 s12, s12, s5
	s_mul_i32 s36, s36, s3
	s_mul_hi_u32 s12, s5, s12
	s_lshl_b32 s2, s2, 2
	s_add_i32 s5, s5, s12
	s_mul_hi_u32 s12, s3, s36
	s_mul_hi_u32 s5, s13, s5
	s_add_i32 s3, s3, s12
	s_mul_i32 s12, s5, s16
	s_add_i32 s15, s21, s4
	s_add_i32 s42, s2, 0
	s_sub_i32 s2, s13, s12
	s_add_i32 s15, s15, -1
	s_add_i32 s12, s5, 1
	s_sub_i32 s36, s2, s16
	s_load_b64 s[40:41], s[0:1], 0x0
	s_cmp_ge_u32 s2, s16
	s_mul_hi_u32 s43, s15, s3
	s_cselect_b32 s5, s12, s5
	s_cselect_b32 s2, s36, s2
	s_load_b128 s[36:39], s[0:1], 0x58
	s_add_i32 s12, s5, 1
	s_cmp_ge_u32 s2, s16
	s_mul_i32 s3, s20, s17
	s_cselect_b32 s5, s12, s5
	s_mul_i32 s3, s3, s21
	s_mul_i32 s2, s5, s16
	;; [unrolled: 1-line block ×3, first 2 shown]
	s_sub_i32 s2, s13, s2
	v_mul_lo_u32 v7, s35, v5
	s_mul_i32 s12, s2, s30
	s_mul_i32 s2, s3, s2
	s_ashr_i32 s13, s12, 31
	s_ashr_i32 s3, s2, 31
	s_lshl_b64 s[12:13], s[12:13], 2
	v_lshlrev_b32_e32 v8, 2, v5
	s_waitcnt lgkmcnt(0)
	s_add_u32 s16, s40, s12
	s_addc_u32 s20, s41, s13
	s_sub_i32 s0, s15, s0
	s_add_i32 s1, s43, 1
	s_sub_i32 s12, s0, s4
	s_cmp_ge_u32 s0, s4
	v_mul_lo_u32 v9, s11, v5
	s_cselect_b32 s1, s1, s43
	s_cselect_b32 s0, s12, s0
	s_add_i32 s12, s1, 1
	s_cmp_ge_u32 s0, s4
	s_mul_i32 s40, s10, s31
	s_cselect_b32 s0, s12, s1
	s_add_i32 s1, s22, -1
	s_max_i32 s4, s22, s23
	s_mul_i32 s30, s1, s28
	s_add_i32 s1, s23, -1
	s_add_i32 s30, s30, 1
	s_mul_i32 s1, s1, s29
	s_mul_i32 s12, s6, s10
	s_add_i32 s22, s1, 1
	s_cmp_lt_i32 s4, 4
	s_mul_i32 s40, s40, s6
	s_cselect_b32 s1, -1, 0
	s_cmp_ge_u32 s12, s17
	v_mov_b32_e32 v29, 0xff800000
	s_cselect_b32 s4, -1, 0
	s_max_u32 s23, s28, 1
	s_and_b32 s35, s1, s4
	v_cvt_f32_u32_e32 v1, s23
	s_lshl_b32 s41, s6, 2
	s_delay_alu instid0(VALU_DEP_1) | instskip(SKIP_3) | instid1(VALU_DEP_1)
	v_rcp_iflag_f32_e32 v6, v1
	v_mad_u64_u32 v[1:2], null, s5, s6, v[3:4]
	s_mul_i32 s5, s33, s7
	v_lshlrev_b32_e32 v2, 2, v3
	v_dual_mov_b32 v16, 0 :: v_dual_add_nc_u32 v17, 0, v2
	s_waitcnt_depctr 0xfff
	v_mul_f32_e32 v10, 0x4f7ffffe, v6
	v_mad_u64_u32 v[5:6], null, s0, s14, v[4:5]
	v_lshl_add_u32 v6, s5, 2, v8
	s_sub_i32 s5, 0, s23
	v_mul_lo_u32 v3, v1, s31
	v_lshlrev_b32_e32 v8, 2, v7
	s_lshl_b32 s31, s29, 1
	v_mul_lo_u32 v12, s11, v6
	v_add_nc_u32_e32 v13, s0, v5
	v_cvt_u32_f32_e32 v10, v10
	v_add3_u32 v18, s42, v8, v2
	v_cmp_gt_i32_e64 s0, s17, v1
	v_ashrrev_i32_e32 v4, 31, v3
	v_min_i32_e32 v19, s21, v13
	v_mul_lo_u32 v11, s5, v10
	s_lshl_b64 s[4:5], s[2:3], 2
	v_mul_lo_u32 v23, v12, s6
	v_lshlrev_b64 v[6:7], 2, v[3:4]
	s_add_u32 s4, s36, s4
	v_add_nc_u32_e32 v4, v17, v8
	s_addc_u32 s5, s37, s5
	s_ashr_i32 s13, s12, 31
	v_mul_hi_u32 v2, v10, v11
	v_add_co_u32 v20, vcc_lo, s16, v6
	v_add_co_ci_u32_e32 v21, vcc_lo, s20, v7, vcc_lo
	s_lshl_b64 s[2:3], s[2:3], 3
	s_lshl_b64 s[10:11], s[12:13], 2
	s_add_u32 s2, s38, s2
	s_delay_alu instid0(VALU_DEP_3)
	v_add_nc_u32_e32 v22, v10, v2
	v_ashrrev_i32_e32 v2, 31, v1
	v_mul_lo_u32 v10, v9, s6
	s_addc_u32 s3, s39, s3
	v_cmp_lt_i32_e64 s1, v5, v19
	s_mul_i32 s36, s17, s33
	v_lshlrev_b64 v[6:7], 2, v[1:2]
	s_lshl_b64 s[14:15], s[12:13], 3
	s_delay_alu instid0(VALU_DEP_3) | instskip(NEXT) | instid1(VALU_DEP_2)
	v_lshlrev_b32_e32 v24, 2, v10
	v_mad_u64_u32 v[8:9], null, s21, v0, v[5:6]
	v_add_co_u32 v25, vcc_lo, s4, v6
	s_delay_alu instid0(VALU_DEP_4) | instskip(SKIP_2) | instid1(VALU_DEP_4)
	v_add_co_ci_u32_e32 v26, vcc_lo, s5, v7, vcc_lo
	v_lshlrev_b64 v[6:7], 3, v[1:2]
	s_mul_i32 s21, s21, s17
	v_mul_lo_u32 v27, s17, v8
	s_mul_i32 s21, s21, s7
	s_delay_alu instid0(VALU_DEP_2) | instskip(NEXT) | instid1(VALU_DEP_3)
	v_add_co_u32 v2, vcc_lo, s2, v6
	v_add_co_ci_u32_e32 v28, vcc_lo, s3, v7, vcc_lo
	s_branch .LBB4_6
.LBB4_5:                                ;   in Loop: Header=BB4_6 Depth=1
	s_or_b32 exec_lo, exec_lo, s13
	v_add_nc_u32_e32 v0, s7, v0
	v_add_nc_u32_e32 v27, s21, v27
	s_delay_alu instid0(VALU_DEP_2) | instskip(SKIP_1) | instid1(SALU_CYCLE_1)
	v_cmp_ge_i32_e32 vcc_lo, v0, v15
	s_or_b32 s34, vcc_lo, s34
	s_and_not1_b32 exec_lo, exec_lo, s34
	s_cbranch_execz .LBB4_74
.LBB4_6:                                ; =>This Loop Header: Depth=1
                                        ;     Child Loop BB4_9 Depth 2
                                        ;       Child Loop BB4_10 Depth 3
                                        ;       Child Loop BB4_63 Depth 3
                                        ;         Child Loop BB4_66 Depth 4
                                        ;           Child Loop BB4_69 Depth 5
                                        ;       Child Loop BB4_73 Depth 3
	s_and_saveexec_b32 s13, s1
	s_cbranch_execz .LBB4_5
; %bb.7:                                ;   in Loop: Header=BB4_6 Depth=1
	v_mul_lo_u32 v6, v0, s24
	v_mov_b32_e32 v31, v5
	s_mov_b32 s37, 0
	v_mov_b32_e32 v8, v27
	s_delay_alu instid0(VALU_DEP_3) | instskip(NEXT) | instid1(VALU_DEP_1)
	v_subrev_nc_u32_e32 v6, s26, v6
	v_add_nc_u32_e32 v7, s30, v6
	s_delay_alu instid0(VALU_DEP_1)
	v_min_i32_e32 v30, s18, v7
	s_branch .LBB4_9
.LBB4_8:                                ;   in Loop: Header=BB4_9 Depth=2
	s_or_b32 exec_lo, exec_lo, s3
	v_add_nc_u32_e32 v31, s33, v31
	v_add_nc_u32_e32 v8, s36, v8
	s_delay_alu instid0(VALU_DEP_2) | instskip(SKIP_1) | instid1(SALU_CYCLE_1)
	v_cmp_ge_i32_e32 vcc_lo, v31, v19
	s_or_b32 s37, vcc_lo, s37
	s_and_not1_b32 exec_lo, exec_lo, s37
	s_cbranch_execz .LBB4_5
.LBB4_9:                                ;   Parent Loop BB4_6 Depth=1
                                        ; =>  This Loop Header: Depth=2
                                        ;       Child Loop BB4_10 Depth 3
                                        ;       Child Loop BB4_63 Depth 3
                                        ;         Child Loop BB4_66 Depth 4
                                        ;           Child Loop BB4_69 Depth 5
                                        ;       Child Loop BB4_73 Depth 3
	v_mul_lo_u32 v7, v31, s25
	s_mov_b32 s2, 0
	s_waitcnt vmcnt(0)
	s_delay_alu instid0(VALU_DEP_1) | instskip(NEXT) | instid1(VALU_DEP_1)
	v_subrev_nc_u32_e32 v9, s27, v7
	v_mov_b32_e32 v33, v9
.LBB4_10:                               ;   Parent Loop BB4_6 Depth=1
                                        ;     Parent Loop BB4_9 Depth=2
                                        ; =>    This Inner Loop Header: Depth=3
	s_delay_alu instid0(VALU_DEP_1) | instskip(NEXT) | instid1(VALU_DEP_1)
	v_mov_b32_e32 v32, v33
	v_cmp_lt_i32_e32 vcc_lo, -1, v32
	v_add_nc_u32_e32 v33, s29, v32
	s_or_b32 s2, vcc_lo, s2
	s_delay_alu instid0(SALU_CYCLE_1)
	s_and_not1_b32 exec_lo, exec_lo, s2
	s_cbranch_execnz .LBB4_10
; %bb.11:                               ;   in Loop: Header=BB4_9 Depth=2
	s_or_b32 exec_lo, exec_lo, s2
	v_lshrrev_b32_e32 v7, 31, v6
	v_max_i32_e32 v10, 0, v6
	s_mov_b32 s3, -1
	s_delay_alu instid0(VALU_DEP_2) | instskip(NEXT) | instid1(VALU_DEP_1)
	v_add_nc_u32_e32 v11, v6, v7
	v_sub_nc_u32_e32 v10, v10, v11
	s_delay_alu instid0(VALU_DEP_1) | instskip(NEXT) | instid1(VALU_DEP_1)
	v_mul_hi_u32 v11, v10, v22
	v_mul_lo_u32 v12, v11, s23
	s_delay_alu instid0(VALU_DEP_1) | instskip(SKIP_1) | instid1(VALU_DEP_2)
	v_sub_nc_u32_e32 v10, v10, v12
	v_add_nc_u32_e32 v12, 1, v11
	v_subrev_nc_u32_e32 v13, s23, v10
	v_cmp_le_u32_e32 vcc_lo, s23, v10
	s_delay_alu instid0(VALU_DEP_2) | instskip(NEXT) | instid1(VALU_DEP_1)
	v_dual_cndmask_b32 v11, v11, v12 :: v_dual_cndmask_b32 v10, v10, v13
	v_add_nc_u32_e32 v12, 1, v11
	s_delay_alu instid0(VALU_DEP_2) | instskip(NEXT) | instid1(VALU_DEP_2)
	v_cmp_le_u32_e32 vcc_lo, s23, v10
	v_dual_mov_b32 v10, v6 :: v_dual_cndmask_b32 v11, v11, v12
	s_and_b32 vcc_lo, exec_lo, s35
	s_delay_alu instid0(VALU_DEP_1) | instskip(NEXT) | instid1(VALU_DEP_1)
	v_add_nc_u32_e32 v11, v7, v11
	v_mad_u64_u32 v[6:7], null, v11, s28, v[10:11]
	v_add_nc_u32_e32 v7, s22, v9
	s_delay_alu instid0(VALU_DEP_1) | instskip(NEXT) | instid1(VALU_DEP_3)
	v_min_i32_e32 v7, s19, v7
	v_cmp_lt_i32_e64 s2, v6, v30
	s_cbranch_vccnz .LBB4_14
; %bb.12:                               ;   in Loop: Header=BB4_9 Depth=2
	s_and_b32 vcc_lo, exec_lo, s3
	s_cbranch_vccnz .LBB4_60
.LBB4_13:                               ;   in Loop: Header=BB4_9 Depth=2
	s_and_saveexec_b32 s3, s0
	s_cbranch_execz .LBB4_8
	s_branch .LBB4_72
.LBB4_14:                               ;   in Loop: Header=BB4_9 Depth=2
	v_mul_lo_u32 v10, v6, s8
	v_mul_lo_u32 v9, v32, s9
	v_cmp_lt_i32_e32 vcc_lo, v32, v7
	v_mov_b32_e32 v35, 0
	v_mov_b32_e32 v37, 0
	v_ashrrev_i32_e32 v11, 31, v10
	s_delay_alu instid0(VALU_DEP_1) | instskip(SKIP_1) | instid1(VALU_DEP_2)
	v_lshlrev_b64 v[11:12], 2, v[10:11]
	v_ashrrev_i32_e32 v10, 31, v9
	v_add_co_u32 v38, s3, v20, v11
	s_delay_alu instid0(VALU_DEP_1) | instskip(SKIP_1) | instid1(SALU_CYCLE_1)
	v_add_co_ci_u32_e64 v40, s3, v21, v12, s3
	s_and_b32 s3, s2, vcc_lo
	s_and_b32 s38, s0, s3
	s_delay_alu instid0(SALU_CYCLE_1)
	s_and_saveexec_b32 s4, s38
	s_cbranch_execz .LBB4_16
; %bb.15:                               ;   in Loop: Header=BB4_9 Depth=2
	v_lshlrev_b64 v[11:12], 2, v[9:10]
	s_delay_alu instid0(VALU_DEP_1) | instskip(NEXT) | instid1(VALU_DEP_1)
	v_add_co_u32 v11, s3, v38, v11
	v_add_co_ci_u32_e64 v12, s3, v40, v12, s3
	global_load_b32 v37, v[11:12], off
.LBB4_16:                               ;   in Loop: Header=BB4_9 Depth=2
	s_or_b32 exec_lo, exec_lo, s4
	v_mul_lo_u32 v11, v33, s9
	v_cmp_lt_i32_e64 s3, v33, v7
	s_delay_alu instid0(VALU_DEP_1) | instskip(NEXT) | instid1(SALU_CYCLE_1)
	s_and_b32 s4, s2, s3
	s_and_b32 s39, s0, s4
	s_delay_alu instid0(VALU_DEP_2)
	v_ashrrev_i32_e32 v12, 31, v11
	s_and_saveexec_b32 s5, s39
	s_cbranch_execz .LBB4_18
; %bb.17:                               ;   in Loop: Header=BB4_9 Depth=2
	s_delay_alu instid0(VALU_DEP_1) | instskip(NEXT) | instid1(VALU_DEP_1)
	v_lshlrev_b64 v[13:14], 2, v[11:12]
	v_add_co_u32 v13, s4, v38, v13
	s_delay_alu instid0(VALU_DEP_1)
	v_add_co_ci_u32_e64 v14, s4, v40, v14, s4
	global_load_b32 v35, v[13:14], off
.LBB4_18:                               ;   in Loop: Header=BB4_9 Depth=2
	s_or_b32 exec_lo, exec_lo, s5
	v_dual_mov_b32 v39, 0 :: v_dual_add_nc_u32 v34, s31, v32
	v_mov_b32_e32 v36, 0
	s_delay_alu instid0(VALU_DEP_2) | instskip(SKIP_1) | instid1(VALU_DEP_1)
	v_mul_lo_u32 v13, v34, s9
	v_cmp_lt_i32_e64 s4, v34, v7
	s_and_b32 s5, s2, s4
	s_delay_alu instid0(SALU_CYCLE_1) | instskip(NEXT) | instid1(VALU_DEP_2)
	s_and_b32 s42, s0, s5
	v_ashrrev_i32_e32 v14, 31, v13
	s_and_saveexec_b32 s6, s42
	s_cbranch_execz .LBB4_20
; %bb.19:                               ;   in Loop: Header=BB4_9 Depth=2
	s_delay_alu instid0(VALU_DEP_1) | instskip(NEXT) | instid1(VALU_DEP_1)
	v_lshlrev_b64 v[41:42], 2, v[13:14]
	v_add_co_u32 v38, s5, v38, v41
	s_delay_alu instid0(VALU_DEP_1)
	v_add_co_ci_u32_e64 v39, s5, v40, v42, s5
	global_load_b32 v39, v[38:39], off
.LBB4_20:                               ;   in Loop: Header=BB4_9 Depth=2
	s_or_b32 exec_lo, exec_lo, s6
	v_add_nc_u32_e32 v41, s28, v6
	s_delay_alu instid0(VALU_DEP_1) | instskip(SKIP_1) | instid1(VALU_DEP_2)
	v_mul_lo_u32 v42, v41, s8
	v_cmp_lt_i32_e64 s5, v41, v30
	v_ashrrev_i32_e32 v43, 31, v42
	s_delay_alu instid0(VALU_DEP_1) | instskip(NEXT) | instid1(VALU_DEP_1)
	v_lshlrev_b64 v[42:43], 2, v[42:43]
	v_add_co_u32 v40, s6, v20, v42
	s_delay_alu instid0(VALU_DEP_1) | instskip(SKIP_1) | instid1(SALU_CYCLE_1)
	v_add_co_ci_u32_e64 v43, s6, v21, v43, s6
	s_and_b32 s6, s5, vcc_lo
	s_and_b32 s43, s0, s6
	s_delay_alu instid0(SALU_CYCLE_1)
	s_and_saveexec_b32 s44, s43
	s_cbranch_execz .LBB4_22
; %bb.21:                               ;   in Loop: Header=BB4_9 Depth=2
	v_lshlrev_b64 v[44:45], 2, v[9:10]
	s_delay_alu instid0(VALU_DEP_1) | instskip(NEXT) | instid1(VALU_DEP_1)
	v_add_co_u32 v44, s6, v40, v44
	v_add_co_ci_u32_e64 v45, s6, v43, v45, s6
	global_load_b32 v36, v[44:45], off
.LBB4_22:                               ;   in Loop: Header=BB4_9 Depth=2
	s_or_b32 exec_lo, exec_lo, s44
	v_mov_b32_e32 v38, 0
	v_mov_b32_e32 v42, 0
	s_and_b32 s6, s5, s3
	s_delay_alu instid0(SALU_CYCLE_1) | instskip(NEXT) | instid1(SALU_CYCLE_1)
	s_and_b32 s45, s0, s6
	s_and_saveexec_b32 s44, s45
	s_cbranch_execz .LBB4_24
; %bb.23:                               ;   in Loop: Header=BB4_9 Depth=2
	v_lshlrev_b64 v[44:45], 2, v[11:12]
	s_delay_alu instid0(VALU_DEP_1) | instskip(NEXT) | instid1(VALU_DEP_1)
	v_add_co_u32 v44, s6, v40, v44
	v_add_co_ci_u32_e64 v45, s6, v43, v45, s6
	global_load_b32 v42, v[44:45], off
.LBB4_24:                               ;   in Loop: Header=BB4_9 Depth=2
	s_or_b32 exec_lo, exec_lo, s44
	s_and_b32 s5, s5, s4
	s_delay_alu instid0(SALU_CYCLE_1) | instskip(NEXT) | instid1(SALU_CYCLE_1)
	s_and_b32 s44, s0, s5
	s_and_saveexec_b32 s6, s44
	s_cbranch_execz .LBB4_26
; %bb.25:                               ;   in Loop: Header=BB4_9 Depth=2
	v_lshlrev_b64 v[44:45], 2, v[13:14]
	s_delay_alu instid0(VALU_DEP_1) | instskip(NEXT) | instid1(VALU_DEP_1)
	v_add_co_u32 v44, s5, v40, v44
	v_add_co_ci_u32_e64 v45, s5, v43, v45, s5
	global_load_b32 v38, v[44:45], off
.LBB4_26:                               ;   in Loop: Header=BB4_9 Depth=2
	s_or_b32 exec_lo, exec_lo, s6
	v_dual_mov_b32 v40, 0 :: v_dual_add_nc_u32 v43, s28, v41
	s_delay_alu instid0(VALU_DEP_1) | instskip(SKIP_1) | instid1(VALU_DEP_2)
	v_mul_lo_u32 v44, v43, s8
	v_cmp_lt_i32_e64 s5, v43, v30
	v_ashrrev_i32_e32 v45, 31, v44
	s_delay_alu instid0(VALU_DEP_1) | instskip(SKIP_1) | instid1(VALU_DEP_2)
	v_lshlrev_b64 v[45:46], 2, v[44:45]
	v_mov_b32_e32 v44, 0
	v_add_co_u32 v45, s6, v20, v45
	s_delay_alu instid0(VALU_DEP_1) | instskip(SKIP_1) | instid1(SALU_CYCLE_1)
	v_add_co_ci_u32_e64 v46, s6, v21, v46, s6
	s_and_b32 s6, s5, vcc_lo
	s_and_b32 s46, s0, s6
	s_delay_alu instid0(SALU_CYCLE_1)
	s_and_saveexec_b32 s6, s46
	s_cbranch_execz .LBB4_28
; %bb.27:                               ;   in Loop: Header=BB4_9 Depth=2
	v_lshlrev_b64 v[9:10], 2, v[9:10]
	s_delay_alu instid0(VALU_DEP_1) | instskip(NEXT) | instid1(VALU_DEP_2)
	v_add_co_u32 v9, vcc_lo, v45, v9
	v_add_co_ci_u32_e32 v10, vcc_lo, v46, v10, vcc_lo
	global_load_b32 v44, v[9:10], off
.LBB4_28:                               ;   in Loop: Header=BB4_9 Depth=2
	s_or_b32 exec_lo, exec_lo, s6
	s_and_b32 s3, s5, s3
	s_delay_alu instid0(SALU_CYCLE_1) | instskip(NEXT) | instid1(SALU_CYCLE_1)
	s_and_b32 s6, s0, s3
	s_and_saveexec_b32 s3, s6
	s_cbranch_execz .LBB4_30
; %bb.29:                               ;   in Loop: Header=BB4_9 Depth=2
	v_lshlrev_b64 v[9:10], 2, v[11:12]
	s_delay_alu instid0(VALU_DEP_1) | instskip(NEXT) | instid1(VALU_DEP_2)
	v_add_co_u32 v9, vcc_lo, v45, v9
	v_add_co_ci_u32_e32 v10, vcc_lo, v46, v10, vcc_lo
	global_load_b32 v40, v[9:10], off
.LBB4_30:                               ;   in Loop: Header=BB4_9 Depth=2
	s_or_b32 exec_lo, exec_lo, s3
	v_mov_b32_e32 v9, 0
	s_and_b32 s3, s5, s4
	s_delay_alu instid0(SALU_CYCLE_1) | instskip(NEXT) | instid1(SALU_CYCLE_1)
	s_and_b32 s4, s0, s3
	s_and_saveexec_b32 s3, s4
	s_cbranch_execz .LBB4_32
; %bb.31:                               ;   in Loop: Header=BB4_9 Depth=2
	v_lshlrev_b64 v[9:10], 2, v[13:14]
	s_delay_alu instid0(VALU_DEP_1) | instskip(NEXT) | instid1(VALU_DEP_2)
	v_add_co_u32 v9, vcc_lo, v45, v9
	v_add_co_ci_u32_e32 v10, vcc_lo, v46, v10, vcc_lo
	global_load_b32 v9, v[9:10], off
.LBB4_32:                               ;   in Loop: Header=BB4_9 Depth=2
	s_or_b32 exec_lo, exec_lo, s3
	v_mul_lo_u32 v10, v6, s19
	s_and_saveexec_b32 s5, s38
	s_cbranch_execz .LBB4_35
; %bb.33:                               ;   in Loop: Header=BB4_9 Depth=2
	ds_load_b32 v11, v18
	s_waitcnt vmcnt(0)
	v_cmp_u_f32_e64 s3, v37, v37
	s_waitcnt lgkmcnt(0)
	v_cmp_gt_f32_e32 vcc_lo, v37, v11
	s_delay_alu instid0(VALU_DEP_2) | instskip(NEXT) | instid1(SALU_CYCLE_1)
	s_or_b32 s3, s3, vcc_lo
	s_and_b32 exec_lo, exec_lo, s3
	s_cbranch_execz .LBB4_35
; %bb.34:                               ;   in Loop: Header=BB4_9 Depth=2
	v_add_nc_u32_e32 v11, v32, v10
	ds_store_b32 v18, v37
	ds_store_b32 v4, v11
.LBB4_35:                               ;   in Loop: Header=BB4_9 Depth=2
	s_or_b32 exec_lo, exec_lo, s5
	s_and_saveexec_b32 s5, s39
	s_cbranch_execz .LBB4_38
; %bb.36:                               ;   in Loop: Header=BB4_9 Depth=2
	ds_load_b32 v11, v18
	s_waitcnt vmcnt(0)
	v_cmp_u_f32_e64 s3, v35, v35
	s_waitcnt lgkmcnt(0)
	v_cmp_gt_f32_e32 vcc_lo, v35, v11
	s_delay_alu instid0(VALU_DEP_2) | instskip(NEXT) | instid1(SALU_CYCLE_1)
	s_or_b32 s3, s3, vcc_lo
	s_and_b32 exec_lo, exec_lo, s3
	s_cbranch_execz .LBB4_38
; %bb.37:                               ;   in Loop: Header=BB4_9 Depth=2
	v_add_nc_u32_e32 v11, v33, v10
	ds_store_b32 v18, v35
	ds_store_b32 v4, v11
.LBB4_38:                               ;   in Loop: Header=BB4_9 Depth=2
	s_or_b32 exec_lo, exec_lo, s5
	s_and_saveexec_b32 s5, s42
	s_cbranch_execz .LBB4_41
; %bb.39:                               ;   in Loop: Header=BB4_9 Depth=2
	ds_load_b32 v11, v18
	s_waitcnt vmcnt(0)
	v_cmp_u_f32_e64 s3, v39, v39
	s_waitcnt lgkmcnt(0)
	v_cmp_gt_f32_e32 vcc_lo, v39, v11
	s_delay_alu instid0(VALU_DEP_2) | instskip(NEXT) | instid1(SALU_CYCLE_1)
	s_or_b32 s3, s3, vcc_lo
	s_and_b32 exec_lo, exec_lo, s3
	s_cbranch_execz .LBB4_41
; %bb.40:                               ;   in Loop: Header=BB4_9 Depth=2
	v_add_nc_u32_e32 v10, v34, v10
	ds_store_b32 v18, v39
	ds_store_b32 v4, v10
.LBB4_41:                               ;   in Loop: Header=BB4_9 Depth=2
	s_or_b32 exec_lo, exec_lo, s5
	v_mul_lo_u32 v10, v41, s19
	s_and_saveexec_b32 s5, s43
	s_cbranch_execz .LBB4_44
; %bb.42:                               ;   in Loop: Header=BB4_9 Depth=2
	ds_load_b32 v11, v18
	s_waitcnt vmcnt(0)
	v_cmp_u_f32_e64 s3, v36, v36
	s_waitcnt lgkmcnt(0)
	v_cmp_gt_f32_e32 vcc_lo, v36, v11
	s_delay_alu instid0(VALU_DEP_2) | instskip(NEXT) | instid1(SALU_CYCLE_1)
	s_or_b32 s3, s3, vcc_lo
	s_and_b32 exec_lo, exec_lo, s3
	s_cbranch_execz .LBB4_44
; %bb.43:                               ;   in Loop: Header=BB4_9 Depth=2
	v_add_nc_u32_e32 v11, v32, v10
	ds_store_b32 v18, v36
	ds_store_b32 v4, v11
.LBB4_44:                               ;   in Loop: Header=BB4_9 Depth=2
	s_or_b32 exec_lo, exec_lo, s5
	s_and_saveexec_b32 s5, s45
	s_cbranch_execz .LBB4_47
; %bb.45:                               ;   in Loop: Header=BB4_9 Depth=2
	ds_load_b32 v11, v18
	s_waitcnt vmcnt(0)
	v_cmp_u_f32_e64 s3, v42, v42
	s_waitcnt lgkmcnt(0)
	v_cmp_gt_f32_e32 vcc_lo, v42, v11
	s_delay_alu instid0(VALU_DEP_2) | instskip(NEXT) | instid1(SALU_CYCLE_1)
	s_or_b32 s3, s3, vcc_lo
	s_and_b32 exec_lo, exec_lo, s3
	s_cbranch_execz .LBB4_47
; %bb.46:                               ;   in Loop: Header=BB4_9 Depth=2
	v_add_nc_u32_e32 v11, v33, v10
	ds_store_b32 v18, v42
	ds_store_b32 v4, v11
.LBB4_47:                               ;   in Loop: Header=BB4_9 Depth=2
	s_or_b32 exec_lo, exec_lo, s5
	s_and_saveexec_b32 s5, s44
	s_cbranch_execz .LBB4_50
; %bb.48:                               ;   in Loop: Header=BB4_9 Depth=2
	ds_load_b32 v11, v18
	s_waitcnt vmcnt(0)
	v_cmp_u_f32_e64 s3, v38, v38
	s_waitcnt lgkmcnt(0)
	v_cmp_gt_f32_e32 vcc_lo, v38, v11
	s_delay_alu instid0(VALU_DEP_2) | instskip(NEXT) | instid1(SALU_CYCLE_1)
	s_or_b32 s3, s3, vcc_lo
	s_and_b32 exec_lo, exec_lo, s3
	s_cbranch_execz .LBB4_50
; %bb.49:                               ;   in Loop: Header=BB4_9 Depth=2
	v_add_nc_u32_e32 v10, v34, v10
	ds_store_b32 v18, v38
	ds_store_b32 v4, v10
.LBB4_50:                               ;   in Loop: Header=BB4_9 Depth=2
	;; [unrolled: 55-line block ×3, first 2 shown]
	s_or_b32 exec_lo, exec_lo, s5
	s_branch .LBB4_13
.LBB4_60:                               ;   in Loop: Header=BB4_9 Depth=2
	s_delay_alu instid0(VALU_DEP_1)
	s_and_saveexec_b32 s4, s2
	s_cbranch_execz .LBB4_71
; %bb.61:                               ;   in Loop: Header=BB4_9 Depth=2
	v_cmp_lt_i32_e32 vcc_lo, v32, v7
	v_mov_b32_e32 v11, v6
	s_mov_b32 s5, 0
	s_branch .LBB4_63
.LBB4_62:                               ;   in Loop: Header=BB4_63 Depth=3
	s_or_b32 exec_lo, exec_lo, s6
	v_add_nc_u32_e32 v11, s28, v11
	s_delay_alu instid0(VALU_DEP_1) | instskip(NEXT) | instid1(VALU_DEP_1)
	v_cmp_ge_i32_e64 s2, v11, v30
	s_or_b32 s5, s2, s5
	s_delay_alu instid0(SALU_CYCLE_1)
	s_and_not1_b32 exec_lo, exec_lo, s5
	s_cbranch_execz .LBB4_71
.LBB4_63:                               ;   Parent Loop BB4_6 Depth=1
                                        ;     Parent Loop BB4_9 Depth=2
                                        ; =>    This Loop Header: Depth=3
                                        ;         Child Loop BB4_66 Depth 4
                                        ;           Child Loop BB4_69 Depth 5
	s_and_saveexec_b32 s6, vcc_lo
	s_cbranch_execz .LBB4_62
; %bb.64:                               ;   in Loop: Header=BB4_63 Depth=3
	s_waitcnt vmcnt(0)
	v_mul_lo_u32 v9, v11, s8
	v_mul_lo_u32 v12, v11, s19
	v_mov_b32_e32 v33, v32
	s_mov_b32 s38, 0
	s_delay_alu instid0(VALU_DEP_3) | instskip(NEXT) | instid1(VALU_DEP_1)
	v_ashrrev_i32_e32 v10, 31, v9
	v_lshlrev_b64 v[9:10], 2, v[9:10]
	s_delay_alu instid0(VALU_DEP_1) | instskip(NEXT) | instid1(VALU_DEP_1)
	v_add_co_u32 v13, s2, s16, v9
	v_add_co_ci_u32_e64 v14, s2, s20, v10, s2
	s_branch .LBB4_66
.LBB4_65:                               ;   in Loop: Header=BB4_66 Depth=4
	s_set_inst_prefetch_distance 0x2
	s_or_b32 exec_lo, exec_lo, s39
	v_add_nc_u32_e32 v33, s29, v33
	s_delay_alu instid0(VALU_DEP_1) | instskip(NEXT) | instid1(VALU_DEP_1)
	v_cmp_ge_i32_e64 s2, v33, v7
	s_or_b32 s38, s2, s38
	s_delay_alu instid0(SALU_CYCLE_1)
	s_and_not1_b32 exec_lo, exec_lo, s38
	s_cbranch_execz .LBB4_62
.LBB4_66:                               ;   Parent Loop BB4_6 Depth=1
                                        ;     Parent Loop BB4_9 Depth=2
                                        ;       Parent Loop BB4_63 Depth=3
                                        ; =>      This Loop Header: Depth=4
                                        ;           Child Loop BB4_69 Depth 5
	s_and_saveexec_b32 s39, s0
	s_cbranch_execz .LBB4_65
; %bb.67:                               ;   in Loop: Header=BB4_66 Depth=4
	v_mul_lo_u32 v9, v33, s9
	v_add_nc_u32_e32 v34, v33, v12
	v_mov_b32_e32 v35, v17
	v_mov_b32_e32 v38, v1
	s_mov_b32 s42, 0
	s_delay_alu instid0(VALU_DEP_4) | instskip(NEXT) | instid1(VALU_DEP_1)
	v_ashrrev_i32_e32 v10, 31, v9
	v_lshlrev_b64 v[36:37], 2, v[9:10]
	v_mov_b32_e32 v9, v3
	s_delay_alu instid0(VALU_DEP_2) | instskip(NEXT) | instid1(VALU_DEP_1)
	v_add_co_u32 v36, s2, v13, v36
	v_add_co_ci_u32_e64 v37, s2, v14, v37, s2
	s_set_inst_prefetch_distance 0x1
	s_branch .LBB4_69
	.p2align	6
.LBB4_68:                               ;   in Loop: Header=BB4_69 Depth=5
	s_or_b32 exec_lo, exec_lo, s2
	v_add_nc_u32_e32 v38, s12, v38
	v_add_nc_u32_e32 v9, s40, v9
	;; [unrolled: 1-line block ×3, first 2 shown]
	s_delay_alu instid0(VALU_DEP_3) | instskip(NEXT) | instid1(VALU_DEP_1)
	v_cmp_le_i32_e64 s2, s17, v38
	s_or_b32 s42, s2, s42
	s_delay_alu instid0(SALU_CYCLE_1)
	s_and_not1_b32 exec_lo, exec_lo, s42
	s_cbranch_execz .LBB4_65
.LBB4_69:                               ;   Parent Loop BB4_6 Depth=1
                                        ;     Parent Loop BB4_9 Depth=2
                                        ;       Parent Loop BB4_63 Depth=3
                                        ;         Parent Loop BB4_66 Depth=4
                                        ; =>        This Inner Loop Header: Depth=5
	v_ashrrev_i32_e32 v10, 31, v9
	s_delay_alu instid0(VALU_DEP_1) | instskip(NEXT) | instid1(VALU_DEP_1)
	v_lshlrev_b64 v[39:40], 2, v[9:10]
	v_add_co_u32 v39, s2, v36, v39
	s_delay_alu instid0(VALU_DEP_1)
	v_add_co_ci_u32_e64 v40, s2, v37, v40, s2
	global_load_b32 v10, v[39:40], off
	v_add_nc_u32_e32 v39, v35, v23
	ds_load_b32 v40, v39
	s_waitcnt vmcnt(0) lgkmcnt(0)
	v_cmp_gt_f32_e64 s2, v10, v40
	v_cmp_u_f32_e64 s3, v10, v10
	s_delay_alu instid0(VALU_DEP_1) | instskip(NEXT) | instid1(SALU_CYCLE_1)
	s_or_b32 s3, s3, s2
	s_and_saveexec_b32 s2, s3
	s_cbranch_execz .LBB4_68
; %bb.70:                               ;   in Loop: Header=BB4_69 Depth=5
	v_add_nc_u32_e32 v40, v35, v24
	ds_store_b32 v39, v10
	ds_store_b32 v40, v34
	s_branch .LBB4_68
.LBB4_71:                               ;   in Loop: Header=BB4_9 Depth=2
	s_or_b32 exec_lo, exec_lo, s4
	s_and_saveexec_b32 s3, s0
	s_cbranch_execz .LBB4_8
.LBB4_72:                               ;   in Loop: Header=BB4_9 Depth=2
	s_waitcnt vmcnt(0)
	v_ashrrev_i32_e32 v9, 31, v8
	v_mov_b32_e32 v7, v17
	s_mov_b32 s4, 0
	s_delay_alu instid0(VALU_DEP_2) | instskip(SKIP_1) | instid1(VALU_DEP_2)
	v_lshlrev_b64 v[10:11], 2, v[8:9]
	v_lshlrev_b64 v[12:13], 3, v[8:9]
	v_add_co_u32 v9, vcc_lo, v25, v10
	s_delay_alu instid0(VALU_DEP_3) | instskip(NEXT) | instid1(VALU_DEP_3)
	v_add_co_ci_u32_e32 v10, vcc_lo, v26, v11, vcc_lo
	v_add_co_u32 v11, vcc_lo, v2, v12
	s_delay_alu instid0(VALU_DEP_4)
	v_add_co_ci_u32_e32 v12, vcc_lo, v28, v13, vcc_lo
	v_mov_b32_e32 v13, v1
	.p2align	6
.LBB4_73:                               ;   Parent Loop BB4_6 Depth=1
                                        ;     Parent Loop BB4_9 Depth=2
                                        ; =>    This Inner Loop Header: Depth=3
	v_add_nc_u32_e32 v14, v7, v23
	v_add_nc_u32_e32 v34, v7, v24
	s_delay_alu instid0(VALU_DEP_3)
	v_add_nc_u32_e32 v13, s12, v13
	v_add_nc_u32_e32 v7, s41, v7
	ds_load_b32 v33, v14
	ds_load_b32 v32, v34
	v_cmp_le_i32_e32 vcc_lo, s17, v13
	s_or_b32 s4, vcc_lo, s4
	s_waitcnt lgkmcnt(1)
	global_store_b32 v[9:10], v33, off
	s_waitcnt lgkmcnt(0)
	v_ashrrev_i32_e32 v33, 31, v32
	v_add_co_u32 v9, s2, v9, s10
	s_delay_alu instid0(VALU_DEP_1) | instskip(SKIP_2) | instid1(VALU_DEP_1)
	v_add_co_ci_u32_e64 v10, s2, s11, v10, s2
	global_store_b64 v[11:12], v[32:33], off
	v_add_co_u32 v11, s2, v11, s14
	v_add_co_ci_u32_e64 v12, s2, s15, v12, s2
	ds_store_b32 v14, v29
	ds_store_b32 v34, v16
	s_and_not1_b32 exec_lo, exec_lo, s4
	s_cbranch_execnz .LBB4_73
	s_branch .LBB4_8
.LBB4_74:
	s_nop 0
	s_sendmsg sendmsg(MSG_DEALLOC_VGPRS)
	s_endpgm
	.section	.rodata,"a",@progbits
	.p2align	6, 0x0
	.amdhsa_kernel _ZN2at6native12_GLOBAL__N_121max_pool_forward_nhwcIfiEEvPKT_iT0_S6_S6_S6_S6_iiiiiiiiS6_S6_S6_S6_iiPS3_Pl
		.amdhsa_group_segment_fixed_size 0
		.amdhsa_private_segment_fixed_size 0
		.amdhsa_kernarg_size 360
		.amdhsa_user_sgpr_count 13
		.amdhsa_user_sgpr_dispatch_ptr 0
		.amdhsa_user_sgpr_queue_ptr 0
		.amdhsa_user_sgpr_kernarg_segment_ptr 1
		.amdhsa_user_sgpr_dispatch_id 0
		.amdhsa_user_sgpr_private_segment_size 0
		.amdhsa_wavefront_size32 1
		.amdhsa_uses_dynamic_stack 0
		.amdhsa_enable_private_segment 0
		.amdhsa_system_sgpr_workgroup_id_x 1
		.amdhsa_system_sgpr_workgroup_id_y 1
		.amdhsa_system_sgpr_workgroup_id_z 1
		.amdhsa_system_sgpr_workgroup_info 0
		.amdhsa_system_vgpr_workitem_id 2
		.amdhsa_next_free_vgpr 47
		.amdhsa_next_free_sgpr 47
		.amdhsa_reserve_vcc 1
		.amdhsa_float_round_mode_32 0
		.amdhsa_float_round_mode_16_64 0
		.amdhsa_float_denorm_mode_32 3
		.amdhsa_float_denorm_mode_16_64 3
		.amdhsa_dx10_clamp 1
		.amdhsa_ieee_mode 1
		.amdhsa_fp16_overflow 0
		.amdhsa_workgroup_processor_mode 1
		.amdhsa_memory_ordered 1
		.amdhsa_forward_progress 0
		.amdhsa_shared_vgpr_count 0
		.amdhsa_exception_fp_ieee_invalid_op 0
		.amdhsa_exception_fp_denorm_src 0
		.amdhsa_exception_fp_ieee_div_zero 0
		.amdhsa_exception_fp_ieee_overflow 0
		.amdhsa_exception_fp_ieee_underflow 0
		.amdhsa_exception_fp_ieee_inexact 0
		.amdhsa_exception_int_div_zero 0
	.end_amdhsa_kernel
	.section	.text._ZN2at6native12_GLOBAL__N_121max_pool_forward_nhwcIfiEEvPKT_iT0_S6_S6_S6_S6_iiiiiiiiS6_S6_S6_S6_iiPS3_Pl,"axG",@progbits,_ZN2at6native12_GLOBAL__N_121max_pool_forward_nhwcIfiEEvPKT_iT0_S6_S6_S6_S6_iiiiiiiiS6_S6_S6_S6_iiPS3_Pl,comdat
.Lfunc_end4:
	.size	_ZN2at6native12_GLOBAL__N_121max_pool_forward_nhwcIfiEEvPKT_iT0_S6_S6_S6_S6_iiiiiiiiS6_S6_S6_S6_iiPS3_Pl, .Lfunc_end4-_ZN2at6native12_GLOBAL__N_121max_pool_forward_nhwcIfiEEvPKT_iT0_S6_S6_S6_S6_iiiiiiiiS6_S6_S6_S6_iiPS3_Pl
                                        ; -- End function
	.section	.AMDGPU.csdata,"",@progbits
; Kernel info:
; codeLenInByte = 3564
; NumSgprs: 49
; NumVgprs: 47
; ScratchSize: 0
; MemoryBound: 0
; FloatMode: 240
; IeeeMode: 1
; LDSByteSize: 0 bytes/workgroup (compile time only)
; SGPRBlocks: 6
; VGPRBlocks: 5
; NumSGPRsForWavesPerEU: 49
; NumVGPRsForWavesPerEU: 47
; Occupancy: 16
; WaveLimiterHint : 1
; COMPUTE_PGM_RSRC2:SCRATCH_EN: 0
; COMPUTE_PGM_RSRC2:USER_SGPR: 13
; COMPUTE_PGM_RSRC2:TRAP_HANDLER: 0
; COMPUTE_PGM_RSRC2:TGID_X_EN: 1
; COMPUTE_PGM_RSRC2:TGID_Y_EN: 1
; COMPUTE_PGM_RSRC2:TGID_Z_EN: 1
; COMPUTE_PGM_RSRC2:TIDIG_COMP_CNT: 2
	.section	.text._ZN2at6native12_GLOBAL__N_121max_pool_forward_nhwcIflEEvPKT_iT0_S6_S6_S6_S6_iiiiiiiiS6_S6_S6_S6_iiPS3_Pl,"axG",@progbits,_ZN2at6native12_GLOBAL__N_121max_pool_forward_nhwcIflEEvPKT_iT0_S6_S6_S6_S6_iiiiiiiiS6_S6_S6_S6_iiPS3_Pl,comdat
	.globl	_ZN2at6native12_GLOBAL__N_121max_pool_forward_nhwcIflEEvPKT_iT0_S6_S6_S6_S6_iiiiiiiiS6_S6_S6_S6_iiPS3_Pl ; -- Begin function _ZN2at6native12_GLOBAL__N_121max_pool_forward_nhwcIflEEvPKT_iT0_S6_S6_S6_S6_iiiiiiiiS6_S6_S6_S6_iiPS3_Pl
	.p2align	8
	.type	_ZN2at6native12_GLOBAL__N_121max_pool_forward_nhwcIflEEvPKT_iT0_S6_S6_S6_S6_iiiiiiiiS6_S6_S6_S6_iiPS3_Pl,@function
_ZN2at6native12_GLOBAL__N_121max_pool_forward_nhwcIflEEvPKT_iT0_S6_S6_S6_S6_iiiiiiiiS6_S6_S6_S6_iiPS3_Pl: ; @_ZN2at6native12_GLOBAL__N_121max_pool_forward_nhwcIflEEvPKT_iT0_S6_S6_S6_S6_iiiiiiiiS6_S6_S6_S6_iiPS3_Pl
; %bb.0:
	s_clause 0x1
	s_load_b128 s[4:7], s[0:1], 0x94
	s_load_b64 s[44:45], s[0:1], 0x78
	v_bfe_u32 v5, v0, 10, 10
	v_bfe_u32 v2, v0, 20, 10
	v_and_b32_e32 v6, 0x3ff, v0
	s_waitcnt lgkmcnt(0)
	s_lshr_b32 s33, s6, 16
	s_and_b32 s3, s6, 0xffff
	v_mad_u32_u24 v7, v2, s33, v5
	s_mul_i32 s2, s3, s45
	s_and_b32 s46, s7, 0xffff
	s_mul_i32 s6, s2, s33
	s_mov_b32 s7, exec_lo
	v_mad_u64_u32 v[0:1], null, v7, s3, v[6:7]
	s_mul_i32 s6, s6, s46
	s_delay_alu instid0(VALU_DEP_1) | instid1(SALU_CYCLE_1)
	v_cmpx_gt_u32_e64 s6, v0
	s_cbranch_execz .LBB5_3
; %bb.1:
	v_mov_b32_e32 v3, 0
	v_lshlrev_b32_e32 v1, 2, v0
	s_lshl_b32 s9, s6, 3
	s_mul_i32 s8, s33, s3
	v_lshl_add_u32 v8, v0, 3, 0
	v_mov_b32_e32 v4, v3
	v_add3_u32 v1, 0, s9, v1
	v_mov_b32_e32 v9, 0xff800000
	s_mul_i32 s8, s8, s46
	s_mov_b32 s9, 0
	s_lshl_b32 s10, s8, 2
	s_lshl_b32 s11, s8, 3
.LBB5_2:                                ; =>This Inner Loop Header: Depth=1
	v_add_nc_u32_e32 v0, s8, v0
	ds_store_b32 v1, v9
	ds_store_b64 v8, v[3:4]
	v_add_nc_u32_e32 v1, s10, v1
	v_add_nc_u32_e32 v8, s11, v8
	v_cmp_le_u32_e32 vcc_lo, s6, v0
	s_or_b32 s9, vcc_lo, s9
	s_delay_alu instid0(SALU_CYCLE_1)
	s_and_not1_b32 exec_lo, exec_lo, s9
	s_cbranch_execnz .LBB5_2
.LBB5_3:
	s_or_b32 exec_lo, exec_lo, s7
	v_cvt_f32_u32_e32 v0, s5
	s_clause 0x1
	s_load_b32 s7, s[0:1], 0x8
	s_load_b256 s[16:23], s[0:1], 0x10
	s_sub_i32 s9, 0, s5
	s_waitcnt lgkmcnt(0)
	s_barrier
	v_rcp_iflag_f32_e32 v0, v0
	buffer_gl0_inv
	v_mul_f32_e32 v0, 0x4f7ffffe, v0
	s_delay_alu instid0(VALU_DEP_1) | instskip(SKIP_1) | instid1(SALU_CYCLE_1)
	v_cvt_u32_f32_e32 v0, v0
	s_add_i32 s10, s22, s5
	s_add_i32 s10, s10, -1
	s_delay_alu instid0(VALU_DEP_1) | instskip(SKIP_1) | instid1(VALU_DEP_2)
	v_readfirstlane_b32 s8, v0
	v_cvt_f32_u32_e32 v0, s7
	s_mul_i32 s9, s9, s8
	s_delay_alu instid0(VALU_DEP_1) | instskip(SKIP_3) | instid1(SALU_CYCLE_1)
	v_rcp_iflag_f32_e32 v3, v0
	s_mul_hi_u32 s9, s8, s9
	v_cvt_f32_u32_e32 v0, s4
	s_add_i32 s8, s8, s9
	s_mul_hi_u32 s8, s10, s8
	s_delay_alu instid0(VALU_DEP_1) | instskip(SKIP_1) | instid1(SALU_CYCLE_1)
	v_rcp_iflag_f32_e32 v4, v0
	s_mul_i32 s9, s8, s5
	s_sub_i32 s9, s10, s9
	s_add_i32 s10, s8, 1
	s_sub_i32 s11, s9, s5
	s_cmp_ge_u32 s9, s5
	s_cselect_b32 s8, s10, s8
	s_cselect_b32 s9, s11, s9
	s_add_i32 s10, s8, 1
	s_cmp_ge_u32 s9, s5
	s_mov_b32 s9, exec_lo
	s_cselect_b32 s5, s10, s8
	s_waitcnt_depctr 0xfff
	v_mad_u64_u32 v[0:1], null, s5, s15, v[2:3]
	v_dual_mul_f32 v1, 0x4f7ffffe, v3 :: v_dual_mul_f32 v2, 0x4f7ffffe, v4
	s_mov_b32 s15, 0
	s_delay_alu instid0(VALU_DEP_1) | instskip(NEXT) | instid1(VALU_DEP_3)
	v_cvt_u32_f32_e32 v1, v1
	v_add_nc_u32_e32 v3, s5, v0
	s_delay_alu instid0(VALU_DEP_3) | instskip(NEXT) | instid1(VALU_DEP_3)
	v_cvt_u32_f32_e32 v2, v2
	v_readfirstlane_b32 s8, v1
	s_delay_alu instid0(VALU_DEP_3) | instskip(NEXT) | instid1(VALU_DEP_3)
	v_min_i32_e32 v36, s22, v3
	v_readfirstlane_b32 s5, v2
	s_delay_alu instid0(VALU_DEP_2)
	v_cmpx_lt_i32_e64 v0, v36
	s_cbranch_execz .LBB5_78
; %bb.4:
	s_clause 0x1
	s_load_b64 s[34:35], s[0:1], 0x30
	s_load_b64 s[48:49], s[0:1], 0x0
	s_sub_i32 s9, 0, s7
	s_sub_i32 s10, 0, s4
	s_mul_i32 s9, s9, s8
	s_lshl_b32 s6, s6, 3
	s_mul_hi_u32 s9, s8, s9
	s_mul_i32 s10, s10, s5
	s_add_i32 s8, s8, s9
	s_load_b256 s[24:31], s[0:1], 0x58
	s_add_i32 s60, s6, 0
	s_mul_hi_u32 s6, s5, s10
	s_mul_hi_u32 s8, s13, s8
	s_add_i32 s12, s5, s6
	s_mul_i32 s5, s8, s7
	s_add_i32 s6, s8, 1
	s_sub_i32 s5, s13, s5
	v_mul_lo_u32 v3, s2, v7
	s_sub_i32 s10, s5, s7
	s_load_b256 s[36:43], s[0:1], 0x38
	s_waitcnt lgkmcnt(0)
	s_add_i32 s9, s34, s4
	v_mov_b32_e32 v44, 0xff800000
	s_add_i32 s50, s9, -1
	s_cmp_ge_u32 s5, s7
	s_cselect_b32 s2, s6, s8
	s_cselect_b32 s5, s10, s5
	s_add_i32 s6, s2, 1
	s_cmp_ge_u32 s5, s7
	s_load_b128 s[8:11], s[0:1], 0x80
	s_cselect_b32 s2, s6, s2
	v_lshlrev_b32_e32 v10, 2, v3
	s_mul_i32 s5, s2, s7
	v_mad_u64_u32 v[1:2], null, s2, s3, v[6:7]
	s_sub_i32 s5, s13, s5
	v_lshlrev_b32_e32 v11, 3, v3
	s_mul_i32 s0, s5, s25
	s_mul_hi_u32 s1, s5, s24
	s_ashr_i32 s6, s5, 31
	s_add_i32 s1, s1, s0
	s_mul_i32 s7, s6, s24
	s_mul_i32 s0, s5, s24
	s_add_i32 s1, s1, s7
	s_mul_hi_u32 s7, s50, s12
	s_lshl_b64 s[0:1], s[0:1], 2
	s_mul_i32 s12, s7, s4
	s_add_u32 s47, s48, s0
	s_addc_u32 s48, s49, s1
	s_sub_i32 s0, s50, s12
	s_add_i32 s1, s7, 1
	s_sub_i32 s12, s0, s4
	s_cmp_ge_u32 s0, s4
	v_ashrrev_i32_e32 v2, 31, v1
	s_cselect_b32 s1, s1, s7
	s_cselect_b32 s0, s12, s0
	s_add_i32 s2, s1, 1
	s_cmp_ge_u32 s0, s4
	v_mul_lo_u32 v8, v1, s27
	s_cselect_b32 s0, s2, s1
	v_mul_lo_u32 v9, v2, s26
	v_mad_u64_u32 v[3:4], null, s0, s14, v[5:6]
	v_mad_u64_u32 v[4:5], null, v1, s26, 0
	s_add_i32 s1, s37, -1
	s_mul_i32 s14, s3, s44
	s_mul_i32 s1, s1, s43
	s_ashr_i32 s13, s42, 31
	s_delay_alu instid0(VALU_DEP_2) | instskip(SKIP_1) | instid1(VALU_DEP_2)
	v_add_nc_u32_e32 v12, s0, v3
	s_add_i32 s0, s36, -1
	v_add3_u32 v5, v5, v8, v9
	s_mul_i32 s0, s0, s42
	s_add_i32 s53, s1, 1
	s_max_i32 s1, s36, s37
	s_mul_i32 s37, s33, s46
	v_lshlrev_b64 v[8:9], 2, v[4:5]
	s_add_i32 s51, s0, 1
	s_mov_b32 s12, s42
	v_cmp_ge_i64_e64 s2, s[14:15], s[16:17]
	s_mov_b32 s49, s40
	s_ashr_i32 s40, s40, 31
	v_add_co_u32 v38, vcc_lo, s47, v8
	v_add_co_ci_u32_e32 v39, vcc_lo, s48, v9, vcc_lo
	v_lshlrev_b32_e32 v9, 2, v7
	s_ashr_i32 s50, s41, 31
	s_ashr_i32 s52, s51, 31
	;; [unrolled: 1-line block ×4, first 2 shown]
	v_lshl_add_u32 v9, s37, 3, v9
	v_cmp_gt_u64_e64 s4, s[12:13], 1
	s_cmp_lt_i32 s1, 4
	v_lshlrev_b32_e32 v8, 2, v6
	s_cselect_b32 s1, -1, 0
	v_mul_lo_u32 v9, s45, v9
	v_lshlrev_b32_e32 v6, 3, v6
	s_and_b32 s58, s1, s2
	s_ashr_i32 s7, s44, 31
	s_and_b32 s4, s4, exec_lo
	s_mov_b32 s24, s14
	s_cselect_b32 s14, s13, 0
	s_cselect_b32 s59, s42, 1
	v_add3_u32 v40, s60, v10, v8
	v_add3_u32 v41, 0, v11, v6
	v_cvt_f32_u32_e32 v10, s59
	v_cvt_f32_u32_e32 v11, s14
	v_mul_lo_u32 v9, v9, s3
	v_mul_lo_u32 v7, s45, v7
	s_add_u32 s4, s41, s43
	s_addc_u32 s36, s50, s56
	v_fmac_f32_e32 v10, 0x4f800000, v11
	s_mov_b32 s54, s41
	s_sub_u32 s41, 0, s4
	s_mul_hi_u32 s4, s26, s44
	v_add3_u32 v42, v9, v8, 0
	v_rcp_f32_e32 v8, v10
	v_mul_lo_u32 v7, v7, s3
	s_mul_i32 s7, s26, s7
	s_subb_u32 s60, 0, s36
	s_add_i32 s4, s4, s7
	s_mul_i32 s7, s27, s44
	v_min_i32_e32 v37, s34, v12
	s_add_i32 s4, s4, s7
	s_mul_i32 s7, s26, s44
	v_lshlrev_b32_e32 v7, 3, v7
	s_waitcnt_depctr 0xfff
	v_mul_f32_e32 v11, 0x5f7ffffc, v8
	s_mul_i32 s4, s4, s3
	s_mul_hi_u32 s26, s7, s3
	v_lshlrev_b64 v[8:9], 2, v[1:2]
	v_add3_u32 v43, v7, v6, 0
	v_mul_f32_e32 v10, 0x2f800000, v11
	v_lshlrev_b64 v[6:7], 3, v[1:2]
	s_mul_hi_i32 s25, s3, s44
	s_add_i32 s44, s26, s4
	s_mul_i32 s45, s7, s3
	v_trunc_f32_e32 v12, v10
	s_mul_i32 s4, s34, s23
	s_mul_hi_u32 s7, s34, s22
	s_lshl_b32 s61, s3, 2
	s_lshl_b32 s62, s3, 3
	v_fmac_f32_e32 v11, 0xcf800000, v12
	s_add_i32 s3, s7, s4
	s_mul_i32 s4, s34, s22
	s_mul_i32 s7, s35, s22
	s_waitcnt lgkmcnt(0)
	v_add_co_u32 v6, vcc_lo, s10, v6
	s_mul_i32 s6, s4, s6
	s_mul_hi_u32 s22, s4, s5
	s_add_i32 s3, s3, s7
	v_add_co_ci_u32_e32 v7, vcc_lo, s11, v7, vcc_lo
	v_add_co_u32 v8, vcc_lo, s8, v8
	v_cmp_le_i64_e64 s1, s[16:17], v[1:2]
	v_cmp_gt_i64_e64 s2, s[16:17], v[1:2]
	s_add_i32 s6, s22, s6
	s_mul_i32 s3, s3, s5
	v_cmp_lt_i32_e64 s0, v3, v37
	v_add_co_ci_u32_e32 v9, vcc_lo, s9, v9, vcc_lo
	v_mov_b32_e32 v10, 0
	v_cvt_u32_f32_e32 v45, v11
	v_cvt_u32_f32_e32 v46, v12
	s_add_i32 s7, s6, s3
	s_mul_i32 s6, s4, s5
	s_mov_b32 s57, s43
	s_lshl_b64 s[10:11], s[6:7], 3
	s_lshl_b64 s[22:23], s[24:25], 3
	;; [unrolled: 1-line block ×4, first 2 shown]
	s_branch .LBB5_6
.LBB5_5:                                ;   in Loop: Header=BB5_6 Depth=1
	s_or_b32 exec_lo, exec_lo, s9
	v_add_nc_u32_e32 v0, s46, v0
	s_delay_alu instid0(VALU_DEP_1) | instskip(SKIP_1) | instid1(SALU_CYCLE_1)
	v_cmp_ge_i32_e32 vcc_lo, v0, v36
	s_or_b32 s15, vcc_lo, s15
	s_and_not1_b32 exec_lo, exec_lo, s15
	s_cbranch_execz .LBB5_78
.LBB5_6:                                ; =>This Loop Header: Depth=1
                                        ;     Child Loop BB5_9 Depth 2
                                        ;       Child Loop BB5_14 Depth 3
                                        ;       Child Loop BB5_67 Depth 3
                                        ;         Child Loop BB5_70 Depth 4
                                        ;           Child Loop BB5_73 Depth 5
                                        ;       Child Loop BB5_77 Depth 3
	s_and_saveexec_b32 s9, s0
	s_cbranch_execz .LBB5_5
; %bb.7:                                ;   in Loop: Header=BB5_6 Depth=1
	v_mad_i64_i32 v[11:12], null, v0, s38, 0
	v_ashrrev_i32_e32 v18, 31, v0
	v_mul_lo_u32 v19, s35, v0
	s_mov_b32 s63, 0
	v_mov_b32_e32 v47, v3
	s_delay_alu instid0(VALU_DEP_4) | instskip(SKIP_2) | instid1(VALU_DEP_3)
	v_sub_co_u32 v14, vcc_lo, v11, s49
	v_subrev_co_ci_u32_e32 v15, vcc_lo, s40, v12, vcc_lo
	v_mad_u64_u32 v[12:13], null, s34, v0, 0
	v_add_co_u32 v16, vcc_lo, v14, s51
	s_delay_alu instid0(VALU_DEP_3) | instskip(SKIP_1) | instid1(VALU_DEP_2)
	v_add_co_ci_u32_e32 v17, vcc_lo, s52, v15, vcc_lo
	v_mul_lo_u32 v11, s34, v18
	v_cmp_gt_i64_e32 vcc_lo, s[18:19], v[16:17]
	s_delay_alu instid0(VALU_DEP_2)
	v_add3_u32 v13, v13, v11, v19
	v_cndmask_b32_e32 v17, s19, v17, vcc_lo
	v_cndmask_b32_e32 v16, s18, v16, vcc_lo
	s_branch .LBB5_9
.LBB5_8:                                ;   in Loop: Header=BB5_9 Depth=2
	s_or_b32 exec_lo, exec_lo, s4
	v_add_nc_u32_e32 v47, s33, v47
	s_delay_alu instid0(VALU_DEP_1) | instskip(SKIP_1) | instid1(SALU_CYCLE_1)
	v_cmp_ge_i32_e32 vcc_lo, v47, v37
	s_or_b32 s63, vcc_lo, s63
	s_and_not1_b32 exec_lo, exec_lo, s63
	s_cbranch_execz .LBB5_5
.LBB5_9:                                ;   Parent Loop BB5_6 Depth=1
                                        ; =>  This Loop Header: Depth=2
                                        ;       Child Loop BB5_14 Depth 3
                                        ;       Child Loop BB5_67 Depth 3
                                        ;         Child Loop BB5_70 Depth 4
                                        ;           Child Loop BB5_73 Depth 5
                                        ;       Child Loop BB5_77 Depth 3
	v_cmp_lt_i64_e32 vcc_lo, 0, v[14:15]
	v_lshrrev_b32_e32 v24, 31, v15
	s_mov_b32 s3, exec_lo
	v_dual_cndmask_b32 v11, 0, v15 :: v_dual_cndmask_b32 v18, 0, v14
	s_delay_alu instid0(VALU_DEP_2) | instskip(SKIP_1) | instid1(VALU_DEP_2)
	v_add_co_u32 v19, vcc_lo, v14, v24
	v_add_co_ci_u32_e32 v20, vcc_lo, 0, v15, vcc_lo
	v_sub_co_u32 v18, vcc_lo, v18, v19
	s_delay_alu instid0(VALU_DEP_2) | instskip(NEXT) | instid1(VALU_DEP_1)
	v_sub_co_ci_u32_e32 v19, vcc_lo, v11, v20, vcc_lo
                                        ; implicit-def: $vgpr20_vgpr21
	v_or_b32_e32 v11, s14, v19
	s_delay_alu instid0(VALU_DEP_1)
	v_cmpx_ne_u64_e32 0, v[10:11]
	s_xor_b32 s4, exec_lo, s3
	s_cbranch_execz .LBB5_11
; %bb.10:                               ;   in Loop: Header=BB5_9 Depth=2
	s_sub_u32 s3, 0, s59
	s_subb_u32 s5, 0, s14
	v_mul_hi_u32 v11, s3, v45
	v_mul_lo_u32 v20, s3, v46
	v_mul_lo_u32 v21, s5, v45
	s_delay_alu instid0(VALU_DEP_2) | instskip(SKIP_1) | instid1(VALU_DEP_2)
	v_add_nc_u32_e32 v11, v11, v20
	v_mul_lo_u32 v20, s3, v45
	v_add_nc_u32_e32 v11, v11, v21
	s_delay_alu instid0(VALU_DEP_2) | instskip(NEXT) | instid1(VALU_DEP_2)
	v_mul_hi_u32 v21, v45, v20
	v_mul_lo_u32 v22, v45, v11
	v_mul_hi_u32 v23, v45, v11
	v_mul_hi_u32 v25, v46, v20
	v_mul_lo_u32 v20, v46, v20
	v_mul_hi_u32 v26, v46, v11
	v_mul_lo_u32 v11, v46, v11
	v_add_co_u32 v21, vcc_lo, v21, v22
	v_add_co_ci_u32_e32 v22, vcc_lo, 0, v23, vcc_lo
	s_delay_alu instid0(VALU_DEP_2) | instskip(NEXT) | instid1(VALU_DEP_2)
	v_add_co_u32 v20, vcc_lo, v21, v20
	v_add_co_ci_u32_e32 v20, vcc_lo, v22, v25, vcc_lo
	v_add_co_ci_u32_e32 v21, vcc_lo, 0, v26, vcc_lo
	s_delay_alu instid0(VALU_DEP_2) | instskip(NEXT) | instid1(VALU_DEP_2)
	v_add_co_u32 v11, vcc_lo, v20, v11
	v_add_co_ci_u32_e32 v20, vcc_lo, 0, v21, vcc_lo
	s_delay_alu instid0(VALU_DEP_2) | instskip(NEXT) | instid1(VALU_DEP_2)
	v_add_co_u32 v11, vcc_lo, v45, v11
	v_add_co_ci_u32_e32 v20, vcc_lo, v46, v20, vcc_lo
	s_delay_alu instid0(VALU_DEP_2) | instskip(SKIP_1) | instid1(VALU_DEP_3)
	v_mul_hi_u32 v21, s3, v11
	v_mul_lo_u32 v23, s5, v11
	v_mul_lo_u32 v22, s3, v20
	s_delay_alu instid0(VALU_DEP_1) | instskip(SKIP_1) | instid1(VALU_DEP_2)
	v_add_nc_u32_e32 v21, v21, v22
	v_mul_lo_u32 v22, s3, v11
	v_add_nc_u32_e32 v21, v21, v23
	s_delay_alu instid0(VALU_DEP_2) | instskip(NEXT) | instid1(VALU_DEP_2)
	v_mul_hi_u32 v23, v11, v22
	v_mul_lo_u32 v25, v11, v21
	v_mul_hi_u32 v26, v11, v21
	v_mul_hi_u32 v27, v20, v22
	v_mul_lo_u32 v22, v20, v22
	v_mul_hi_u32 v28, v20, v21
	v_mul_lo_u32 v21, v20, v21
	v_add_co_u32 v23, vcc_lo, v23, v25
	v_add_co_ci_u32_e32 v25, vcc_lo, 0, v26, vcc_lo
	s_delay_alu instid0(VALU_DEP_2) | instskip(NEXT) | instid1(VALU_DEP_2)
	v_add_co_u32 v22, vcc_lo, v23, v22
	v_add_co_ci_u32_e32 v22, vcc_lo, v25, v27, vcc_lo
	v_add_co_ci_u32_e32 v23, vcc_lo, 0, v28, vcc_lo
	s_delay_alu instid0(VALU_DEP_2) | instskip(NEXT) | instid1(VALU_DEP_2)
	v_add_co_u32 v21, vcc_lo, v22, v21
	v_add_co_ci_u32_e32 v22, vcc_lo, 0, v23, vcc_lo
	s_delay_alu instid0(VALU_DEP_2) | instskip(NEXT) | instid1(VALU_DEP_2)
	v_add_co_u32 v11, vcc_lo, v11, v21
	v_add_co_ci_u32_e32 v27, vcc_lo, v20, v22, vcc_lo
	s_delay_alu instid0(VALU_DEP_2) | instskip(SKIP_1) | instid1(VALU_DEP_3)
	v_mul_hi_u32 v28, v18, v11
	v_mad_u64_u32 v[22:23], null, v19, v11, 0
	v_mad_u64_u32 v[20:21], null, v18, v27, 0
	;; [unrolled: 1-line block ×3, first 2 shown]
	s_delay_alu instid0(VALU_DEP_2) | instskip(NEXT) | instid1(VALU_DEP_3)
	v_add_co_u32 v11, vcc_lo, v28, v20
	v_add_co_ci_u32_e32 v20, vcc_lo, 0, v21, vcc_lo
	s_delay_alu instid0(VALU_DEP_2) | instskip(NEXT) | instid1(VALU_DEP_2)
	v_add_co_u32 v11, vcc_lo, v11, v22
	v_add_co_ci_u32_e32 v11, vcc_lo, v20, v23, vcc_lo
	v_add_co_ci_u32_e32 v20, vcc_lo, 0, v26, vcc_lo
	s_delay_alu instid0(VALU_DEP_2) | instskip(NEXT) | instid1(VALU_DEP_2)
	v_add_co_u32 v11, vcc_lo, v11, v25
	v_add_co_ci_u32_e32 v22, vcc_lo, 0, v20, vcc_lo
	s_delay_alu instid0(VALU_DEP_2) | instskip(SKIP_1) | instid1(VALU_DEP_3)
	v_mul_lo_u32 v23, s14, v11
	v_mad_u64_u32 v[20:21], null, s59, v11, 0
	v_mul_lo_u32 v25, s59, v22
	s_delay_alu instid0(VALU_DEP_2) | instskip(NEXT) | instid1(VALU_DEP_2)
	v_sub_co_u32 v18, vcc_lo, v18, v20
	v_add3_u32 v21, v21, v25, v23
	s_delay_alu instid0(VALU_DEP_1) | instskip(NEXT) | instid1(VALU_DEP_1)
	v_sub_nc_u32_e32 v23, v19, v21
	v_subrev_co_ci_u32_e64 v20, s3, s14, v23, vcc_lo
	v_add_co_u32 v23, s3, v11, 2
	s_delay_alu instid0(VALU_DEP_1) | instskip(SKIP_3) | instid1(VALU_DEP_3)
	v_add_co_ci_u32_e64 v25, s3, 0, v22, s3
	v_sub_co_u32 v26, s3, v18, s59
	v_sub_co_ci_u32_e32 v19, vcc_lo, v19, v21, vcc_lo
	v_subrev_co_ci_u32_e64 v20, s3, 0, v20, s3
	v_cmp_le_u32_e32 vcc_lo, s59, v26
	s_delay_alu instid0(VALU_DEP_3) | instskip(SKIP_1) | instid1(VALU_DEP_4)
	v_cmp_eq_u32_e64 s3, s14, v19
	v_cndmask_b32_e64 v21, 0, -1, vcc_lo
	v_cmp_le_u32_e32 vcc_lo, s14, v20
	v_cndmask_b32_e64 v26, 0, -1, vcc_lo
	v_cmp_le_u32_e32 vcc_lo, s59, v18
	;; [unrolled: 2-line block ×3, first 2 shown]
	v_cndmask_b32_e64 v27, 0, -1, vcc_lo
	v_cmp_eq_u32_e32 vcc_lo, s14, v20
	s_delay_alu instid0(VALU_DEP_2) | instskip(SKIP_3) | instid1(VALU_DEP_3)
	v_cndmask_b32_e64 v18, v27, v18, s3
	v_cndmask_b32_e32 v20, v26, v21, vcc_lo
	v_add_co_u32 v21, vcc_lo, v11, 1
	v_add_co_ci_u32_e32 v26, vcc_lo, 0, v22, vcc_lo
	v_cmp_ne_u32_e32 vcc_lo, 0, v20
	s_delay_alu instid0(VALU_DEP_2) | instskip(SKIP_1) | instid1(VALU_DEP_2)
	v_dual_cndmask_b32 v19, v26, v25 :: v_dual_cndmask_b32 v20, v21, v23
	v_cmp_ne_u32_e32 vcc_lo, 0, v18
                                        ; implicit-def: $vgpr18
	v_dual_cndmask_b32 v20, v11, v20 :: v_dual_cndmask_b32 v21, v22, v19
.LBB5_11:                               ;   in Loop: Header=BB5_9 Depth=2
	s_and_not1_saveexec_b32 s3, s4
	s_cbranch_execz .LBB5_13
; %bb.12:                               ;   in Loop: Header=BB5_9 Depth=2
	v_cvt_f32_u32_e32 v11, s59
	s_sub_i32 s4, 0, s59
	v_mov_b32_e32 v21, v10
	s_delay_alu instid0(VALU_DEP_2) | instskip(SKIP_2) | instid1(VALU_DEP_1)
	v_rcp_iflag_f32_e32 v11, v11
	s_waitcnt_depctr 0xfff
	v_mul_f32_e32 v11, 0x4f7ffffe, v11
	v_cvt_u32_f32_e32 v11, v11
	s_delay_alu instid0(VALU_DEP_1) | instskip(NEXT) | instid1(VALU_DEP_1)
	v_mul_lo_u32 v19, s4, v11
	v_mul_hi_u32 v19, v11, v19
	s_delay_alu instid0(VALU_DEP_1) | instskip(NEXT) | instid1(VALU_DEP_1)
	v_add_nc_u32_e32 v11, v11, v19
	v_mul_hi_u32 v11, v18, v11
	s_delay_alu instid0(VALU_DEP_1) | instskip(NEXT) | instid1(VALU_DEP_1)
	v_mul_lo_u32 v19, v11, s59
	v_sub_nc_u32_e32 v18, v18, v19
	v_add_nc_u32_e32 v19, 1, v11
	s_delay_alu instid0(VALU_DEP_2) | instskip(SKIP_1) | instid1(VALU_DEP_2)
	v_subrev_nc_u32_e32 v20, s59, v18
	v_cmp_le_u32_e32 vcc_lo, s59, v18
	v_dual_cndmask_b32 v18, v18, v20 :: v_dual_cndmask_b32 v11, v11, v19
	s_delay_alu instid0(VALU_DEP_1) | instskip(NEXT) | instid1(VALU_DEP_2)
	v_cmp_le_u32_e32 vcc_lo, s59, v18
	v_add_nc_u32_e32 v19, 1, v11
	s_delay_alu instid0(VALU_DEP_1)
	v_cndmask_b32_e32 v20, v11, v19, vcc_lo
.LBB5_13:                               ;   in Loop: Header=BB5_9 Depth=2
	s_or_b32 exec_lo, exec_lo, s3
	v_mad_i64_i32 v[22:23], null, s39, v47, 0
	v_ashrrev_i32_e32 v11, 31, v47
	s_mov_b32 s3, 0
	s_delay_alu instid0(VALU_DEP_2) | instskip(NEXT) | instid1(VALU_DEP_3)
	v_add_co_u32 v18, vcc_lo, s41, v22
	v_add_co_ci_u32_e32 v19, vcc_lo, s60, v23, vcc_lo
.LBB5_14:                               ;   Parent Loop BB5_6 Depth=1
                                        ;     Parent Loop BB5_9 Depth=2
                                        ; =>    This Inner Loop Header: Depth=3
	s_delay_alu instid0(VALU_DEP_2) | instskip(NEXT) | instid1(VALU_DEP_2)
	v_add_co_u32 v18, vcc_lo, v18, s57
	v_add_co_ci_u32_e32 v19, vcc_lo, s56, v19, vcc_lo
	s_delay_alu instid0(VALU_DEP_1) | instskip(SKIP_1) | instid1(SALU_CYCLE_1)
	v_cmp_lt_i64_e32 vcc_lo, -1, v[18:19]
	s_or_b32 s3, vcc_lo, s3
	s_and_not1_b32 exec_lo, exec_lo, s3
	s_cbranch_execnz .LBB5_14
; %bb.15:                               ;   in Loop: Header=BB5_9 Depth=2
	s_or_b32 exec_lo, exec_lo, s3
	v_sub_co_u32 v22, vcc_lo, v22, s54
	v_subrev_co_ci_u32_e32 v23, vcc_lo, s50, v23, vcc_lo
	v_add_co_u32 v24, vcc_lo, v24, v20
	v_add_co_ci_u32_e32 v25, vcc_lo, 0, v21, vcc_lo
	s_delay_alu instid0(VALU_DEP_4) | instskip(NEXT) | instid1(VALU_DEP_4)
	v_add_co_u32 v20, vcc_lo, v22, s53
	v_add_co_ci_u32_e32 v21, vcc_lo, s55, v23, vcc_lo
	s_delay_alu instid0(VALU_DEP_4) | instskip(NEXT) | instid1(VALU_DEP_4)
	v_mul_lo_u32 v26, v24, s13
	v_mul_lo_u32 v25, v25, s12
	v_mad_u64_u32 v[22:23], null, v24, s12, v[14:15]
	s_delay_alu instid0(VALU_DEP_4) | instskip(SKIP_1) | instid1(VALU_DEP_2)
	v_cmp_gt_i64_e32 vcc_lo, s[20:21], v[20:21]
	s_mov_b32 s3, -1
	v_add3_u32 v15, v25, v23, v26
	s_delay_alu instid0(VALU_DEP_3)
	v_dual_cndmask_b32 v21, s21, v21 :: v_dual_mov_b32 v14, v22
	v_cndmask_b32_e32 v20, s20, v20, vcc_lo
	s_and_b32 vcc_lo, exec_lo, s58
	s_cbranch_vccnz .LBB5_18
; %bb.16:                               ;   in Loop: Header=BB5_9 Depth=2
	s_and_b32 vcc_lo, exec_lo, s3
	s_cbranch_vccnz .LBB5_64
.LBB5_17:                               ;   in Loop: Header=BB5_9 Depth=2
	s_and_saveexec_b32 s4, s2
	s_cbranch_execz .LBB5_8
	s_branch .LBB5_76
.LBB5_18:                               ;   in Loop: Header=BB5_9 Depth=2
	s_delay_alu instid0(VALU_DEP_2) | instskip(SKIP_3) | instid1(VALU_DEP_4)
	v_ashrrev_i32_e32 v29, 31, v14
	v_mul_lo_u32 v26, v14, s29
	v_mad_u64_u32 v[24:25], null, v14, s28, 0
	v_mov_b32_e32 v28, v14
	v_mul_lo_u32 v27, v29, s28
	v_ashrrev_i32_e32 v23, 31, v18
	v_mov_b32_e32 v22, v18
	s_waitcnt vmcnt(0)
	v_mov_b32_e32 v48, 0
	v_cmp_le_i64_e32 vcc_lo, v[16:17], v[28:29]
	v_mov_b32_e32 v50, 0
	v_mul_lo_u32 v34, v23, s30
	v_cmp_le_i64_e64 s5, v[20:21], v[22:23]
	v_add3_u32 v25, v25, v26, v27
	v_mul_lo_u32 v35, v22, s31
	s_delay_alu instid0(VALU_DEP_3) | instskip(NEXT) | instid1(VALU_DEP_2)
	s_or_b32 s4, vcc_lo, s5
	v_lshlrev_b64 v[24:25], 2, v[24:25]
	s_delay_alu instid0(VALU_DEP_1) | instskip(NEXT) | instid1(VALU_DEP_1)
	v_add_co_u32 v30, s3, v38, v24
	v_add_co_ci_u32_e64 v31, s3, v39, v25, s3
	s_or_b32 s3, s4, s1
	s_delay_alu instid0(SALU_CYCLE_1) | instskip(NEXT) | instid1(SALU_CYCLE_1)
	s_xor_b32 s3, s3, -1
	s_and_saveexec_b32 s4, s3
	s_cbranch_execz .LBB5_20
; %bb.19:                               ;   in Loop: Header=BB5_9 Depth=2
	v_mad_u64_u32 v[24:25], null, v22, s30, 0
	s_delay_alu instid0(VALU_DEP_1) | instskip(NEXT) | instid1(VALU_DEP_1)
	v_add3_u32 v25, v25, v35, v34
	v_lshlrev_b64 v[24:25], 2, v[24:25]
	s_delay_alu instid0(VALU_DEP_1) | instskip(NEXT) | instid1(VALU_DEP_1)
	v_add_co_u32 v24, s3, v30, v24
	v_add_co_ci_u32_e64 v25, s3, v31, v25, s3
	global_load_b32 v50, v[24:25], off
.LBB5_20:                               ;   in Loop: Header=BB5_9 Depth=2
	s_or_b32 exec_lo, exec_lo, s4
	v_add_nc_u32_e32 v24, s43, v18
	s_delay_alu instid0(VALU_DEP_1) | instskip(SKIP_1) | instid1(VALU_DEP_2)
	v_ashrrev_i32_e32 v25, 31, v24
	v_mul_lo_u32 v57, v24, s31
	v_cmp_le_i64_e64 s6, v[20:21], v[24:25]
	v_mul_lo_u32 v55, v25, s30
	s_delay_alu instid0(VALU_DEP_2) | instskip(NEXT) | instid1(SALU_CYCLE_1)
	s_or_b32 s3, vcc_lo, s6
	s_or_b32 s3, s3, s1
	s_delay_alu instid0(SALU_CYCLE_1) | instskip(NEXT) | instid1(SALU_CYCLE_1)
	s_xor_b32 s3, s3, -1
	s_and_saveexec_b32 s4, s3
	s_cbranch_execz .LBB5_22
; %bb.21:                               ;   in Loop: Header=BB5_9 Depth=2
	v_mad_u64_u32 v[26:27], null, v24, s30, 0
	s_delay_alu instid0(VALU_DEP_1) | instskip(NEXT) | instid1(VALU_DEP_1)
	v_add3_u32 v27, v27, v57, v55
	v_lshlrev_b64 v[26:27], 2, v[26:27]
	s_delay_alu instid0(VALU_DEP_1) | instskip(NEXT) | instid1(VALU_DEP_1)
	v_add_co_u32 v26, s3, v30, v26
	v_add_co_ci_u32_e64 v27, s3, v31, v27, s3
	global_load_b32 v48, v[26:27], off
.LBB5_22:                               ;   in Loop: Header=BB5_9 Depth=2
	s_or_b32 exec_lo, exec_lo, s4
	v_dual_mov_b32 v49, 0 :: v_dual_add_nc_u32 v26, s43, v24
	v_mov_b32_e32 v53, 0
	s_delay_alu instid0(VALU_DEP_2) | instskip(SKIP_1) | instid1(VALU_DEP_2)
	v_ashrrev_i32_e32 v27, 31, v26
	v_mul_lo_u32 v58, v26, s31
	v_cmp_le_i64_e64 s7, v[20:21], v[26:27]
	v_mul_lo_u32 v59, v27, s30
	s_delay_alu instid0(VALU_DEP_2) | instskip(NEXT) | instid1(SALU_CYCLE_1)
	s_or_b32 s3, vcc_lo, s7
	s_or_b32 s3, s3, s1
	s_delay_alu instid0(SALU_CYCLE_1) | instskip(NEXT) | instid1(SALU_CYCLE_1)
	s_xor_b32 s3, s3, -1
	s_and_saveexec_b32 s4, s3
	s_cbranch_execz .LBB5_24
; %bb.23:                               ;   in Loop: Header=BB5_9 Depth=2
	v_mad_u64_u32 v[32:33], null, v26, s30, 0
	s_delay_alu instid0(VALU_DEP_1) | instskip(NEXT) | instid1(VALU_DEP_1)
	v_add3_u32 v33, v33, v58, v59
	v_lshlrev_b64 v[32:33], 2, v[32:33]
	s_delay_alu instid0(VALU_DEP_1) | instskip(NEXT) | instid1(VALU_DEP_1)
	v_add_co_u32 v30, s3, v30, v32
	v_add_co_ci_u32_e64 v31, s3, v31, v33, s3
	global_load_b32 v53, v[30:31], off
.LBB5_24:                               ;   in Loop: Header=BB5_9 Depth=2
	s_or_b32 exec_lo, exec_lo, s4
	v_add_nc_u32_e32 v30, s42, v14
	s_delay_alu instid0(VALU_DEP_1) | instskip(SKIP_2) | instid1(VALU_DEP_3)
	v_ashrrev_i32_e32 v31, 31, v30
	v_mul_lo_u32 v51, v30, s29
	v_mad_u64_u32 v[32:33], null, v30, s28, 0
	v_mul_lo_u32 v52, v31, s28
	v_cmp_le_i64_e64 s3, v[16:17], v[30:31]
	s_delay_alu instid0(VALU_DEP_1) | instskip(NEXT) | instid1(VALU_DEP_2)
	s_or_b32 s8, s3, s5
	v_add3_u32 v33, v33, v51, v52
	s_delay_alu instid0(VALU_DEP_1) | instskip(NEXT) | instid1(VALU_DEP_1)
	v_lshlrev_b64 v[32:33], 2, v[32:33]
	v_add_co_u32 v32, s4, v38, v32
	s_delay_alu instid0(VALU_DEP_1) | instskip(SKIP_1) | instid1(SALU_CYCLE_1)
	v_add_co_ci_u32_e64 v33, s4, v39, v33, s4
	s_or_b32 s4, s8, s1
	s_xor_b32 s4, s4, -1
	s_delay_alu instid0(SALU_CYCLE_1)
	s_and_saveexec_b32 s8, s4
	s_cbranch_execz .LBB5_26
; %bb.25:                               ;   in Loop: Header=BB5_9 Depth=2
	v_mad_u64_u32 v[51:52], null, v22, s30, 0
	s_delay_alu instid0(VALU_DEP_1) | instskip(NEXT) | instid1(VALU_DEP_1)
	v_add3_u32 v52, v52, v35, v34
	v_lshlrev_b64 v[51:52], 2, v[51:52]
	s_delay_alu instid0(VALU_DEP_1) | instskip(NEXT) | instid1(VALU_DEP_1)
	v_add_co_u32 v51, s4, v32, v51
	v_add_co_ci_u32_e64 v52, s4, v33, v52, s4
	global_load_b32 v49, v[51:52], off
.LBB5_26:                               ;   in Loop: Header=BB5_9 Depth=2
	s_or_b32 exec_lo, exec_lo, s8
	s_or_b32 s4, s3, s6
	v_dual_mov_b32 v51, 0 :: v_dual_mov_b32 v54, 0
	s_or_b32 s4, s4, s1
	s_delay_alu instid0(SALU_CYCLE_1) | instskip(NEXT) | instid1(SALU_CYCLE_1)
	s_xor_b32 s4, s4, -1
	s_and_saveexec_b32 s8, s4
	s_cbranch_execz .LBB5_28
; %bb.27:                               ;   in Loop: Header=BB5_9 Depth=2
	v_mad_u64_u32 v[60:61], null, v24, s30, 0
	s_delay_alu instid0(VALU_DEP_1) | instskip(NEXT) | instid1(VALU_DEP_1)
	v_add3_u32 v61, v61, v57, v55
	v_lshlrev_b64 v[60:61], 2, v[60:61]
	s_delay_alu instid0(VALU_DEP_1) | instskip(NEXT) | instid1(VALU_DEP_1)
	v_add_co_u32 v60, s4, v32, v60
	v_add_co_ci_u32_e64 v61, s4, v33, v61, s4
	global_load_b32 v54, v[60:61], off
.LBB5_28:                               ;   in Loop: Header=BB5_9 Depth=2
	s_or_b32 exec_lo, exec_lo, s8
	s_or_b32 s4, s3, s7
	s_delay_alu instid0(SALU_CYCLE_1) | instskip(NEXT) | instid1(SALU_CYCLE_1)
	s_or_b32 s4, s4, s1
	s_xor_b32 s4, s4, -1
	s_delay_alu instid0(SALU_CYCLE_1)
	s_and_saveexec_b32 s8, s4
	s_cbranch_execz .LBB5_30
; %bb.29:                               ;   in Loop: Header=BB5_9 Depth=2
	v_mad_u64_u32 v[51:52], null, v26, s30, 0
	s_delay_alu instid0(VALU_DEP_1) | instskip(NEXT) | instid1(VALU_DEP_1)
	v_add3_u32 v52, v52, v58, v59
	v_lshlrev_b64 v[51:52], 2, v[51:52]
	s_delay_alu instid0(VALU_DEP_1) | instskip(NEXT) | instid1(VALU_DEP_1)
	v_add_co_u32 v32, s4, v32, v51
	v_add_co_ci_u32_e64 v33, s4, v33, v52, s4
	global_load_b32 v51, v[32:33], off
.LBB5_30:                               ;   in Loop: Header=BB5_9 Depth=2
	s_or_b32 exec_lo, exec_lo, s8
	v_add_nc_u32_e32 v32, s42, v30
	s_delay_alu instid0(VALU_DEP_1) | instskip(SKIP_2) | instid1(VALU_DEP_3)
	v_ashrrev_i32_e32 v33, 31, v32
	v_mul_lo_u32 v52, v32, s29
	v_mad_u64_u32 v[60:61], null, v32, s28, 0
	v_mul_lo_u32 v56, v33, s28
	v_cmp_le_i64_e64 s4, v[16:17], v[32:33]
	s_delay_alu instid0(VALU_DEP_1) | instskip(NEXT) | instid1(VALU_DEP_2)
	s_or_b32 s64, s4, s5
	v_add3_u32 v61, v61, v52, v56
	v_mov_b32_e32 v52, 0
	v_mov_b32_e32 v56, 0
	s_delay_alu instid0(VALU_DEP_3) | instskip(NEXT) | instid1(VALU_DEP_1)
	v_lshlrev_b64 v[60:61], 2, v[60:61]
	v_add_co_u32 v60, s8, v38, v60
	s_delay_alu instid0(VALU_DEP_1) | instskip(SKIP_1) | instid1(SALU_CYCLE_1)
	v_add_co_ci_u32_e64 v61, s8, v39, v61, s8
	s_or_b32 s8, s64, s1
	s_xor_b32 s8, s8, -1
	s_delay_alu instid0(SALU_CYCLE_1)
	s_and_saveexec_b32 s64, s8
	s_cbranch_execz .LBB5_32
; %bb.31:                               ;   in Loop: Header=BB5_9 Depth=2
	v_mad_u64_u32 v[62:63], null, v22, s30, 0
	s_delay_alu instid0(VALU_DEP_1) | instskip(NEXT) | instid1(VALU_DEP_1)
	v_add3_u32 v63, v63, v35, v34
	v_lshlrev_b64 v[34:35], 2, v[62:63]
	s_delay_alu instid0(VALU_DEP_1) | instskip(NEXT) | instid1(VALU_DEP_1)
	v_add_co_u32 v34, s8, v60, v34
	v_add_co_ci_u32_e64 v35, s8, v61, v35, s8
	global_load_b32 v56, v[34:35], off
.LBB5_32:                               ;   in Loop: Header=BB5_9 Depth=2
	s_or_b32 exec_lo, exec_lo, s64
	s_or_b32 s8, s4, s6
	s_delay_alu instid0(SALU_CYCLE_1) | instskip(NEXT) | instid1(SALU_CYCLE_1)
	s_or_b32 s8, s8, s1
	s_xor_b32 s8, s8, -1
	s_delay_alu instid0(SALU_CYCLE_1)
	s_and_saveexec_b32 s64, s8
	s_cbranch_execz .LBB5_34
; %bb.33:                               ;   in Loop: Header=BB5_9 Depth=2
	v_mad_u64_u32 v[34:35], null, v24, s30, 0
	s_delay_alu instid0(VALU_DEP_1) | instskip(NEXT) | instid1(VALU_DEP_1)
	v_add3_u32 v35, v35, v57, v55
	v_lshlrev_b64 v[34:35], 2, v[34:35]
	s_delay_alu instid0(VALU_DEP_1) | instskip(NEXT) | instid1(VALU_DEP_1)
	v_add_co_u32 v34, s8, v60, v34
	v_add_co_ci_u32_e64 v35, s8, v61, v35, s8
	global_load_b32 v52, v[34:35], off
.LBB5_34:                               ;   in Loop: Header=BB5_9 Depth=2
	s_or_b32 exec_lo, exec_lo, s64
	s_or_b32 s8, s4, s7
	v_mov_b32_e32 v55, 0
	s_or_b32 s8, s8, s1
	s_delay_alu instid0(SALU_CYCLE_1) | instskip(NEXT) | instid1(SALU_CYCLE_1)
	s_xor_b32 s8, s8, -1
	s_and_saveexec_b32 s64, s8
	s_cbranch_execz .LBB5_36
; %bb.35:                               ;   in Loop: Header=BB5_9 Depth=2
	v_mad_u64_u32 v[34:35], null, v26, s30, 0
	s_delay_alu instid0(VALU_DEP_1) | instskip(NEXT) | instid1(VALU_DEP_1)
	v_add3_u32 v35, v35, v58, v59
	v_lshlrev_b64 v[34:35], 2, v[34:35]
	s_delay_alu instid0(VALU_DEP_1) | instskip(NEXT) | instid1(VALU_DEP_1)
	v_add_co_u32 v34, s8, v60, v34
	v_add_co_ci_u32_e64 v35, s8, v61, v35, s8
	global_load_b32 v55, v[34:35], off
.LBB5_36:                               ;   in Loop: Header=BB5_9 Depth=2
	s_or_b32 exec_lo, exec_lo, s64
	v_mul_lo_u32 v29, v29, s20
	v_mul_lo_u32 v57, v28, s21
	v_mad_u64_u32 v[34:35], null, v28, s20, 0
	s_or_b32 s64, s1, s5
	s_delay_alu instid0(SALU_CYCLE_1) | instskip(NEXT) | instid1(SALU_CYCLE_1)
	s_or_b32 s5, vcc_lo, s64
	s_xor_b32 s5, s5, -1
	s_delay_alu instid0(VALU_DEP_1)
	v_add3_u32 v28, v35, v57, v29
	s_and_saveexec_b32 s65, s5
	s_cbranch_execz .LBB5_39
; %bb.37:                               ;   in Loop: Header=BB5_9 Depth=2
	ds_load_b32 v29, v40
	s_waitcnt vmcnt(0)
	v_cmp_u_f32_e64 s8, v50, v50
	s_waitcnt lgkmcnt(0)
	v_cmp_gt_f32_e64 s5, v50, v29
	s_delay_alu instid0(VALU_DEP_1) | instskip(NEXT) | instid1(SALU_CYCLE_1)
	s_or_b32 s5, s8, s5
	s_and_b32 exec_lo, exec_lo, s5
	s_cbranch_execz .LBB5_39
; %bb.38:                               ;   in Loop: Header=BB5_9 Depth=2
	v_add_co_u32 v57, s5, v34, v22
	s_delay_alu instid0(VALU_DEP_1)
	v_add_co_ci_u32_e64 v58, s5, v28, v23, s5
	ds_store_b32 v40, v50
	ds_store_b64 v41, v[57:58]
.LBB5_39:                               ;   in Loop: Header=BB5_9 Depth=2
	s_or_b32 exec_lo, exec_lo, s65
	s_or_b32 s8, s1, s6
	s_delay_alu instid0(SALU_CYCLE_1) | instskip(NEXT) | instid1(SALU_CYCLE_1)
	s_or_b32 s5, vcc_lo, s8
	s_xor_b32 s5, s5, -1
	s_delay_alu instid0(SALU_CYCLE_1)
	s_and_saveexec_b32 s65, s5
	s_cbranch_execz .LBB5_42
; %bb.40:                               ;   in Loop: Header=BB5_9 Depth=2
	ds_load_b32 v29, v40
	s_waitcnt vmcnt(0)
	v_cmp_u_f32_e64 s6, v48, v48
	s_waitcnt lgkmcnt(0)
	v_cmp_gt_f32_e64 s5, v48, v29
	s_delay_alu instid0(VALU_DEP_1) | instskip(NEXT) | instid1(SALU_CYCLE_1)
	s_or_b32 s5, s6, s5
	s_and_b32 exec_lo, exec_lo, s5
	s_cbranch_execz .LBB5_42
; %bb.41:                               ;   in Loop: Header=BB5_9 Depth=2
	v_add_co_u32 v57, s5, v34, v24
	s_delay_alu instid0(VALU_DEP_1)
	v_add_co_ci_u32_e64 v58, s5, v28, v25, s5
	ds_store_b32 v40, v48
	ds_store_b64 v41, v[57:58]
.LBB5_42:                               ;   in Loop: Header=BB5_9 Depth=2
	s_or_b32 exec_lo, exec_lo, s65
	s_or_b32 s6, s1, s7
	s_delay_alu instid0(SALU_CYCLE_1) | instskip(NEXT) | instid1(SALU_CYCLE_1)
	s_or_b32 s5, vcc_lo, s6
	s_xor_b32 s5, s5, -1
	s_delay_alu instid0(SALU_CYCLE_1)
	s_and_saveexec_b32 s7, s5
	s_cbranch_execz .LBB5_45
; %bb.43:                               ;   in Loop: Header=BB5_9 Depth=2
	ds_load_b32 v29, v40
	s_waitcnt vmcnt(0)
	v_cmp_u_f32_e64 s5, v53, v53
	s_waitcnt lgkmcnt(0)
	v_cmp_gt_f32_e32 vcc_lo, v53, v29
	s_delay_alu instid0(VALU_DEP_2) | instskip(NEXT) | instid1(SALU_CYCLE_1)
	s_or_b32 s5, s5, vcc_lo
	s_and_b32 exec_lo, exec_lo, s5
	s_cbranch_execz .LBB5_45
; %bb.44:                               ;   in Loop: Header=BB5_9 Depth=2
	v_add_co_u32 v34, vcc_lo, v34, v26
	v_add_co_ci_u32_e32 v35, vcc_lo, v28, v27, vcc_lo
	ds_store_b32 v40, v53
	ds_store_b64 v41, v[34:35]
.LBB5_45:                               ;   in Loop: Header=BB5_9 Depth=2
	s_or_b32 exec_lo, exec_lo, s7
	v_mul_lo_u32 v31, v31, s20
	v_mul_lo_u32 v34, v30, s21
	v_mad_u64_u32 v[28:29], null, v30, s20, 0
	s_or_b32 s5, s3, s64
	s_delay_alu instid0(SALU_CYCLE_1) | instskip(NEXT) | instid1(VALU_DEP_1)
	s_xor_b32 s5, s5, -1
	v_add3_u32 v29, v29, v34, v31
	s_and_saveexec_b32 s7, s5
	s_cbranch_execz .LBB5_48
; %bb.46:                               ;   in Loop: Header=BB5_9 Depth=2
	ds_load_b32 v30, v40
	s_waitcnt vmcnt(0)
	v_cmp_u_f32_e64 s5, v49, v49
	s_waitcnt lgkmcnt(0)
	v_cmp_gt_f32_e32 vcc_lo, v49, v30
	s_delay_alu instid0(VALU_DEP_2) | instskip(NEXT) | instid1(SALU_CYCLE_1)
	s_or_b32 s5, s5, vcc_lo
	s_and_b32 exec_lo, exec_lo, s5
	s_cbranch_execz .LBB5_48
; %bb.47:                               ;   in Loop: Header=BB5_9 Depth=2
	v_add_co_u32 v30, vcc_lo, v28, v22
	v_add_co_ci_u32_e32 v31, vcc_lo, v29, v23, vcc_lo
	ds_store_b32 v40, v49
	ds_store_b64 v41, v[30:31]
.LBB5_48:                               ;   in Loop: Header=BB5_9 Depth=2
	s_or_b32 exec_lo, exec_lo, s7
	s_or_b32 s5, s3, s8
	s_delay_alu instid0(SALU_CYCLE_1) | instskip(NEXT) | instid1(SALU_CYCLE_1)
	s_xor_b32 s5, s5, -1
	s_and_saveexec_b32 s7, s5
	s_cbranch_execz .LBB5_51
; %bb.49:                               ;   in Loop: Header=BB5_9 Depth=2
	ds_load_b32 v30, v40
	s_waitcnt vmcnt(0)
	v_cmp_u_f32_e64 s5, v54, v54
	s_waitcnt lgkmcnt(0)
	v_cmp_gt_f32_e32 vcc_lo, v54, v30
	s_delay_alu instid0(VALU_DEP_2) | instskip(NEXT) | instid1(SALU_CYCLE_1)
	s_or_b32 s5, s5, vcc_lo
	s_and_b32 exec_lo, exec_lo, s5
	s_cbranch_execz .LBB5_51
; %bb.50:                               ;   in Loop: Header=BB5_9 Depth=2
	v_add_co_u32 v30, vcc_lo, v28, v24
	v_add_co_ci_u32_e32 v31, vcc_lo, v29, v25, vcc_lo
	ds_store_b32 v40, v54
	ds_store_b64 v41, v[30:31]
.LBB5_51:                               ;   in Loop: Header=BB5_9 Depth=2
	s_or_b32 exec_lo, exec_lo, s7
	s_or_b32 s3, s3, s6
	s_delay_alu instid0(SALU_CYCLE_1) | instskip(NEXT) | instid1(SALU_CYCLE_1)
	s_xor_b32 s3, s3, -1
	s_and_saveexec_b32 s5, s3
	s_cbranch_execz .LBB5_54
; %bb.52:                               ;   in Loop: Header=BB5_9 Depth=2
	ds_load_b32 v30, v40
	s_waitcnt vmcnt(0)
	v_cmp_u_f32_e64 s3, v51, v51
	s_waitcnt lgkmcnt(0)
	v_cmp_gt_f32_e32 vcc_lo, v51, v30
	s_delay_alu instid0(VALU_DEP_2) | instskip(NEXT) | instid1(SALU_CYCLE_1)
	s_or_b32 s3, s3, vcc_lo
	s_and_b32 exec_lo, exec_lo, s3
	s_cbranch_execz .LBB5_54
; %bb.53:                               ;   in Loop: Header=BB5_9 Depth=2
	v_add_co_u32 v28, vcc_lo, v28, v26
	v_add_co_ci_u32_e32 v29, vcc_lo, v29, v27, vcc_lo
	ds_store_b32 v40, v51
	ds_store_b64 v41, v[28:29]
.LBB5_54:                               ;   in Loop: Header=BB5_9 Depth=2
	s_or_b32 exec_lo, exec_lo, s5
	v_mul_lo_u32 v30, v33, s20
	v_mul_lo_u32 v31, v32, s21
	v_mad_u64_u32 v[28:29], null, v32, s20, 0
	s_or_b32 s3, s4, s64
	s_delay_alu instid0(SALU_CYCLE_1) | instskip(NEXT) | instid1(VALU_DEP_1)
	s_xor_b32 s3, s3, -1
	v_add3_u32 v29, v29, v31, v30
	s_and_saveexec_b32 s5, s3
	s_cbranch_execz .LBB5_57
; %bb.55:                               ;   in Loop: Header=BB5_9 Depth=2
	ds_load_b32 v30, v40
	s_waitcnt vmcnt(0)
	v_cmp_u_f32_e64 s3, v56, v56
	s_waitcnt lgkmcnt(0)
	v_cmp_gt_f32_e32 vcc_lo, v56, v30
	s_delay_alu instid0(VALU_DEP_2) | instskip(NEXT) | instid1(SALU_CYCLE_1)
	s_or_b32 s3, s3, vcc_lo
	s_and_b32 exec_lo, exec_lo, s3
	s_cbranch_execz .LBB5_57
; %bb.56:                               ;   in Loop: Header=BB5_9 Depth=2
	v_add_co_u32 v22, vcc_lo, v28, v22
	v_add_co_ci_u32_e32 v23, vcc_lo, v29, v23, vcc_lo
	ds_store_b32 v40, v56
	ds_store_b64 v41, v[22:23]
.LBB5_57:                               ;   in Loop: Header=BB5_9 Depth=2
	s_or_b32 exec_lo, exec_lo, s5
	s_or_b32 s3, s4, s8
	s_delay_alu instid0(SALU_CYCLE_1) | instskip(NEXT) | instid1(SALU_CYCLE_1)
	s_xor_b32 s3, s3, -1
	s_and_saveexec_b32 s5, s3
	s_cbranch_execz .LBB5_60
; %bb.58:                               ;   in Loop: Header=BB5_9 Depth=2
	ds_load_b32 v22, v40
	s_waitcnt vmcnt(0)
	v_cmp_u_f32_e64 s3, v52, v52
	s_waitcnt lgkmcnt(0)
	v_cmp_gt_f32_e32 vcc_lo, v52, v22
	s_delay_alu instid0(VALU_DEP_2) | instskip(NEXT) | instid1(SALU_CYCLE_1)
	s_or_b32 s3, s3, vcc_lo
	s_and_b32 exec_lo, exec_lo, s3
	s_cbranch_execz .LBB5_60
; %bb.59:                               ;   in Loop: Header=BB5_9 Depth=2
	v_add_co_u32 v22, vcc_lo, v28, v24
	v_add_co_ci_u32_e32 v23, vcc_lo, v29, v25, vcc_lo
	ds_store_b32 v40, v52
	ds_store_b64 v41, v[22:23]
.LBB5_60:                               ;   in Loop: Header=BB5_9 Depth=2
	s_or_b32 exec_lo, exec_lo, s5
	s_or_b32 s3, s4, s6
	s_delay_alu instid0(SALU_CYCLE_1) | instskip(NEXT) | instid1(SALU_CYCLE_1)
	s_xor_b32 s3, s3, -1
	s_and_saveexec_b32 s4, s3
	s_cbranch_execz .LBB5_63
; %bb.61:                               ;   in Loop: Header=BB5_9 Depth=2
	ds_load_b32 v22, v40
	s_waitcnt vmcnt(0)
	v_cmp_u_f32_e64 s3, v55, v55
	s_waitcnt lgkmcnt(0)
	v_cmp_gt_f32_e32 vcc_lo, v55, v22
	s_delay_alu instid0(VALU_DEP_2) | instskip(NEXT) | instid1(SALU_CYCLE_1)
	s_or_b32 s3, s3, vcc_lo
	s_and_b32 exec_lo, exec_lo, s3
	s_cbranch_execz .LBB5_63
; %bb.62:                               ;   in Loop: Header=BB5_9 Depth=2
	v_add_co_u32 v22, vcc_lo, v28, v26
	v_add_co_ci_u32_e32 v23, vcc_lo, v29, v27, vcc_lo
	ds_store_b32 v40, v55
	ds_store_b64 v41, v[22:23]
.LBB5_63:                               ;   in Loop: Header=BB5_9 Depth=2
	s_or_b32 exec_lo, exec_lo, s4
	s_branch .LBB5_17
.LBB5_64:                               ;   in Loop: Header=BB5_9 Depth=2
	s_mov_b32 s5, exec_lo
	v_cmpx_lt_i64_e64 v[14:15], v[16:17]
	s_cbranch_execz .LBB5_75
; %bb.65:                               ;   in Loop: Header=BB5_9 Depth=2
	v_cmp_lt_i64_e32 vcc_lo, v[18:19], v[20:21]
	v_dual_mov_b32 v23, v15 :: v_dual_mov_b32 v22, v14
	s_mov_b32 s6, 0
	s_branch .LBB5_67
.LBB5_66:                               ;   in Loop: Header=BB5_67 Depth=3
	s_or_b32 exec_lo, exec_lo, s7
	v_add_co_u32 v22, s3, v22, s12
	s_delay_alu instid0(VALU_DEP_1) | instskip(NEXT) | instid1(VALU_DEP_1)
	v_add_co_ci_u32_e64 v23, s3, s13, v23, s3
	v_cmp_ge_i64_e64 s3, v[22:23], v[16:17]
	s_delay_alu instid0(VALU_DEP_1) | instskip(NEXT) | instid1(SALU_CYCLE_1)
	s_or_b32 s6, s3, s6
	s_and_not1_b32 exec_lo, exec_lo, s6
	s_cbranch_execz .LBB5_75
.LBB5_67:                               ;   Parent Loop BB5_6 Depth=1
                                        ;     Parent Loop BB5_9 Depth=2
                                        ; =>    This Loop Header: Depth=3
                                        ;         Child Loop BB5_70 Depth 4
                                        ;           Child Loop BB5_73 Depth 5
	s_and_saveexec_b32 s7, vcc_lo
	s_cbranch_execz .LBB5_66
; %bb.68:                               ;   in Loop: Header=BB5_67 Depth=3
	v_mul_lo_u32 v24, v23, s28
	v_mul_lo_u32 v25, v22, s29
	v_mad_u64_u32 v[26:27], null, v22, s28, 0
	v_mul_lo_u32 v28, v23, s20
	v_mul_lo_u32 v29, v22, s21
	s_mov_b32 s8, 0
	s_delay_alu instid0(VALU_DEP_3) | instskip(SKIP_1) | instid1(VALU_DEP_2)
	v_add3_u32 v27, v27, v25, v24
	v_mad_u64_u32 v[24:25], null, v22, s20, 0
	v_lshlrev_b64 v[26:27], 2, v[26:27]
	s_delay_alu instid0(VALU_DEP_2) | instskip(NEXT) | instid1(VALU_DEP_2)
	v_add3_u32 v25, v25, v29, v28
	v_add_co_u32 v34, s3, s47, v26
	s_delay_alu instid0(VALU_DEP_1)
	v_add_co_ci_u32_e64 v35, s3, s48, v27, s3
	v_dual_mov_b32 v27, v19 :: v_dual_mov_b32 v26, v18
	s_branch .LBB5_70
.LBB5_69:                               ;   in Loop: Header=BB5_70 Depth=4
	s_set_inst_prefetch_distance 0x2
	s_or_b32 exec_lo, exec_lo, s64
	v_add_co_u32 v26, s3, v26, s57
	s_delay_alu instid0(VALU_DEP_1) | instskip(NEXT) | instid1(VALU_DEP_1)
	v_add_co_ci_u32_e64 v27, s3, s56, v27, s3
	v_cmp_ge_i64_e64 s3, v[26:27], v[20:21]
	s_delay_alu instid0(VALU_DEP_1) | instskip(NEXT) | instid1(SALU_CYCLE_1)
	s_or_b32 s8, s3, s8
	s_and_not1_b32 exec_lo, exec_lo, s8
	s_cbranch_execz .LBB5_66
.LBB5_70:                               ;   Parent Loop BB5_6 Depth=1
                                        ;     Parent Loop BB5_9 Depth=2
                                        ;       Parent Loop BB5_67 Depth=3
                                        ; =>      This Loop Header: Depth=4
                                        ;           Child Loop BB5_73 Depth 5
	s_and_saveexec_b32 s64, s2
	s_cbranch_execz .LBB5_69
; %bb.71:                               ;   in Loop: Header=BB5_70 Depth=4
	s_delay_alu instid0(VALU_DEP_1)
	v_mul_lo_u32 v30, v27, s30
	v_mul_lo_u32 v31, v26, s31
	v_mad_u64_u32 v[28:29], null, v26, s30, 0
	s_waitcnt vmcnt(0)
	v_dual_mov_b32 v48, v43 :: v_dual_mov_b32 v49, v42
	s_mov_b32 s65, 0
	s_delay_alu instid0(VALU_DEP_2) | instskip(SKIP_1) | instid1(VALU_DEP_2)
	v_add3_u32 v29, v29, v31, v30
	v_dual_mov_b32 v31, v5 :: v_dual_mov_b32 v30, v4
	v_lshlrev_b64 v[32:33], 2, v[28:29]
	v_add_co_u32 v28, s3, v26, v24
	s_delay_alu instid0(VALU_DEP_1) | instskip(NEXT) | instid1(VALU_DEP_3)
	v_add_co_ci_u32_e64 v29, s3, v27, v25, s3
	v_add_co_u32 v50, s3, v34, v32
	s_delay_alu instid0(VALU_DEP_1)
	v_add_co_ci_u32_e64 v51, s3, v35, v33, s3
	v_dual_mov_b32 v33, v2 :: v_dual_mov_b32 v32, v1
	s_set_inst_prefetch_distance 0x1
	s_branch .LBB5_73
	.p2align	6
.LBB5_72:                               ;   in Loop: Header=BB5_73 Depth=5
	s_or_b32 exec_lo, exec_lo, s3
	v_add_co_u32 v32, s3, v32, s24
	s_delay_alu instid0(VALU_DEP_1) | instskip(SKIP_1) | instid1(VALU_DEP_1)
	v_add_co_ci_u32_e64 v33, s3, s25, v33, s3
	v_add_co_u32 v30, s4, v30, s45
	v_add_co_ci_u32_e64 v31, s4, s44, v31, s4
	s_delay_alu instid0(VALU_DEP_3) | instskip(SKIP_2) | instid1(VALU_DEP_3)
	v_cmp_le_i64_e64 s3, s[16:17], v[32:33]
	v_add_nc_u32_e32 v49, s61, v49
	v_add_nc_u32_e32 v48, s62, v48
	s_or_b32 s65, s3, s65
	s_delay_alu instid0(SALU_CYCLE_1)
	s_and_not1_b32 exec_lo, exec_lo, s65
	s_cbranch_execz .LBB5_69
.LBB5_73:                               ;   Parent Loop BB5_6 Depth=1
                                        ;     Parent Loop BB5_9 Depth=2
                                        ;       Parent Loop BB5_67 Depth=3
                                        ;         Parent Loop BB5_70 Depth=4
                                        ; =>        This Inner Loop Header: Depth=5
	v_lshlrev_b64 v[52:53], 2, v[30:31]
	s_delay_alu instid0(VALU_DEP_1) | instskip(NEXT) | instid1(VALU_DEP_1)
	v_add_co_u32 v52, s3, v50, v52
	v_add_co_ci_u32_e64 v53, s3, v51, v53, s3
	global_load_b32 v52, v[52:53], off
	ds_load_b32 v53, v49
	s_waitcnt vmcnt(0) lgkmcnt(0)
	v_cmp_gt_f32_e64 s3, v52, v53
	v_cmp_u_f32_e64 s4, v52, v52
	s_delay_alu instid0(VALU_DEP_1) | instskip(NEXT) | instid1(SALU_CYCLE_1)
	s_or_b32 s4, s4, s3
	s_and_saveexec_b32 s3, s4
	s_cbranch_execz .LBB5_72
; %bb.74:                               ;   in Loop: Header=BB5_73 Depth=5
	ds_store_b32 v49, v52
	ds_store_b64 v48, v[28:29]
	s_branch .LBB5_72
.LBB5_75:                               ;   in Loop: Header=BB5_9 Depth=2
	s_or_b32 exec_lo, exec_lo, s5
	s_and_saveexec_b32 s4, s2
	s_cbranch_execz .LBB5_8
.LBB5_76:                               ;   in Loop: Header=BB5_9 Depth=2
	v_add_co_u32 v18, vcc_lo, v12, v47
	v_add_co_ci_u32_e32 v19, vcc_lo, v13, v11, vcc_lo
	v_mov_b32_e32 v24, v43
	s_mov_b32 s5, 0
	s_delay_alu instid0(VALU_DEP_2) | instskip(SKIP_1) | instid1(VALU_DEP_2)
	v_lshlrev_b64 v[20:21], 3, v[18:19]
	v_lshlrev_b64 v[18:19], 2, v[18:19]
	v_add_co_u32 v11, vcc_lo, s10, v20
	s_delay_alu instid0(VALU_DEP_3) | instskip(NEXT) | instid1(VALU_DEP_3)
	v_add_co_ci_u32_e32 v20, vcc_lo, s11, v21, vcc_lo
	v_add_co_u32 v22, vcc_lo, s26, v18
	s_delay_alu instid0(VALU_DEP_4) | instskip(NEXT) | instid1(VALU_DEP_3)
	v_add_co_ci_u32_e32 v21, vcc_lo, s27, v19, vcc_lo
	v_mul_lo_u32 v23, s16, v20
	v_mul_lo_u32 v25, s17, v11
	v_mad_u64_u32 v[18:19], null, s16, v11, v[6:7]
	s_delay_alu instid0(VALU_DEP_4) | instskip(SKIP_2) | instid1(VALU_DEP_4)
	v_mul_lo_u32 v11, s16, v21
	v_mul_lo_u32 v26, s17, v22
	v_mad_u64_u32 v[20:21], null, s16, v22, v[8:9]
	v_add3_u32 v19, v25, v19, v23
	v_mov_b32_e32 v25, v42
	v_dual_mov_b32 v23, v2 :: v_dual_mov_b32 v22, v1
	s_delay_alu instid0(VALU_DEP_4)
	v_add3_u32 v21, v26, v21, v11
	.p2align	6
.LBB5_77:                               ;   Parent Loop BB5_6 Depth=1
                                        ;     Parent Loop BB5_9 Depth=2
                                        ; =>    This Inner Loop Header: Depth=3
	ds_load_b32 v28, v25
	ds_load_b64 v[26:27], v24
	v_mov_b32_e32 v11, v10
	v_add_co_u32 v22, vcc_lo, v22, s24
	v_add_co_ci_u32_e32 v23, vcc_lo, s25, v23, vcc_lo
	ds_store_b32 v25, v44
	ds_store_b64 v24, v[10:11]
	v_add_nc_u32_e32 v24, s62, v24
	v_cmp_le_i64_e32 vcc_lo, s[16:17], v[22:23]
	v_add_nc_u32_e32 v25, s61, v25
	s_waitcnt lgkmcnt(3)
	global_store_b32 v[20:21], v28, off
	s_waitcnt lgkmcnt(2)
	global_store_b64 v[18:19], v[26:27], off
	v_add_co_u32 v18, s3, v18, s22
	s_delay_alu instid0(VALU_DEP_1) | instskip(SKIP_1) | instid1(VALU_DEP_1)
	v_add_co_ci_u32_e64 v19, s3, s23, v19, s3
	v_add_co_u32 v20, s3, v20, s36
	v_add_co_ci_u32_e64 v21, s3, s37, v21, s3
	s_or_b32 s5, vcc_lo, s5
	s_delay_alu instid0(SALU_CYCLE_1)
	s_and_not1_b32 exec_lo, exec_lo, s5
	s_cbranch_execnz .LBB5_77
	s_branch .LBB5_8
.LBB5_78:
	s_nop 0
	s_sendmsg sendmsg(MSG_DEALLOC_VGPRS)
	s_endpgm
	.section	.rodata,"a",@progbits
	.p2align	6, 0x0
	.amdhsa_kernel _ZN2at6native12_GLOBAL__N_121max_pool_forward_nhwcIflEEvPKT_iT0_S6_S6_S6_S6_iiiiiiiiS6_S6_S6_S6_iiPS3_Pl
		.amdhsa_group_segment_fixed_size 0
		.amdhsa_private_segment_fixed_size 0
		.amdhsa_kernarg_size 400
		.amdhsa_user_sgpr_count 13
		.amdhsa_user_sgpr_dispatch_ptr 0
		.amdhsa_user_sgpr_queue_ptr 0
		.amdhsa_user_sgpr_kernarg_segment_ptr 1
		.amdhsa_user_sgpr_dispatch_id 0
		.amdhsa_user_sgpr_private_segment_size 0
		.amdhsa_wavefront_size32 1
		.amdhsa_uses_dynamic_stack 0
		.amdhsa_enable_private_segment 0
		.amdhsa_system_sgpr_workgroup_id_x 1
		.amdhsa_system_sgpr_workgroup_id_y 1
		.amdhsa_system_sgpr_workgroup_id_z 1
		.amdhsa_system_sgpr_workgroup_info 0
		.amdhsa_system_vgpr_workitem_id 2
		.amdhsa_next_free_vgpr 64
		.amdhsa_next_free_sgpr 66
		.amdhsa_reserve_vcc 1
		.amdhsa_float_round_mode_32 0
		.amdhsa_float_round_mode_16_64 0
		.amdhsa_float_denorm_mode_32 3
		.amdhsa_float_denorm_mode_16_64 3
		.amdhsa_dx10_clamp 1
		.amdhsa_ieee_mode 1
		.amdhsa_fp16_overflow 0
		.amdhsa_workgroup_processor_mode 1
		.amdhsa_memory_ordered 1
		.amdhsa_forward_progress 0
		.amdhsa_shared_vgpr_count 0
		.amdhsa_exception_fp_ieee_invalid_op 0
		.amdhsa_exception_fp_denorm_src 0
		.amdhsa_exception_fp_ieee_div_zero 0
		.amdhsa_exception_fp_ieee_overflow 0
		.amdhsa_exception_fp_ieee_underflow 0
		.amdhsa_exception_fp_ieee_inexact 0
		.amdhsa_exception_int_div_zero 0
	.end_amdhsa_kernel
	.section	.text._ZN2at6native12_GLOBAL__N_121max_pool_forward_nhwcIflEEvPKT_iT0_S6_S6_S6_S6_iiiiiiiiS6_S6_S6_S6_iiPS3_Pl,"axG",@progbits,_ZN2at6native12_GLOBAL__N_121max_pool_forward_nhwcIflEEvPKT_iT0_S6_S6_S6_S6_iiiiiiiiS6_S6_S6_S6_iiPS3_Pl,comdat
.Lfunc_end5:
	.size	_ZN2at6native12_GLOBAL__N_121max_pool_forward_nhwcIflEEvPKT_iT0_S6_S6_S6_S6_iiiiiiiiS6_S6_S6_S6_iiPS3_Pl, .Lfunc_end5-_ZN2at6native12_GLOBAL__N_121max_pool_forward_nhwcIflEEvPKT_iT0_S6_S6_S6_S6_iiiiiiiiS6_S6_S6_S6_iiPS3_Pl
                                        ; -- End function
	.section	.AMDGPU.csdata,"",@progbits
; Kernel info:
; codeLenInByte = 5616
; NumSgprs: 68
; NumVgprs: 64
; ScratchSize: 0
; MemoryBound: 0
; FloatMode: 240
; IeeeMode: 1
; LDSByteSize: 0 bytes/workgroup (compile time only)
; SGPRBlocks: 8
; VGPRBlocks: 7
; NumSGPRsForWavesPerEU: 68
; NumVGPRsForWavesPerEU: 64
; Occupancy: 16
; WaveLimiterHint : 1
; COMPUTE_PGM_RSRC2:SCRATCH_EN: 0
; COMPUTE_PGM_RSRC2:USER_SGPR: 13
; COMPUTE_PGM_RSRC2:TRAP_HANDLER: 0
; COMPUTE_PGM_RSRC2:TGID_X_EN: 1
; COMPUTE_PGM_RSRC2:TGID_Y_EN: 1
; COMPUTE_PGM_RSRC2:TGID_Z_EN: 1
; COMPUTE_PGM_RSRC2:TIDIG_COMP_CNT: 2
	.section	.text._ZN2at6native12_GLOBAL__N_121max_pool_forward_nchwIfiEEvT0_PKT_llliiiiiiiiiiPS4_Pl,"axG",@progbits,_ZN2at6native12_GLOBAL__N_121max_pool_forward_nchwIfiEEvT0_PKT_llliiiiiiiiiiPS4_Pl,comdat
	.globl	_ZN2at6native12_GLOBAL__N_121max_pool_forward_nchwIfiEEvT0_PKT_llliiiiiiiiiiPS4_Pl ; -- Begin function _ZN2at6native12_GLOBAL__N_121max_pool_forward_nchwIfiEEvT0_PKT_llliiiiiiiiiiPS4_Pl
	.p2align	8
	.type	_ZN2at6native12_GLOBAL__N_121max_pool_forward_nchwIfiEEvT0_PKT_llliiiiiiiiiiPS4_Pl,@function
_ZN2at6native12_GLOBAL__N_121max_pool_forward_nchwIfiEEvT0_PKT_llliiiiiiiiiiPS4_Pl: ; @_ZN2at6native12_GLOBAL__N_121max_pool_forward_nchwIfiEEvT0_PKT_llliiiiiiiiiiPS4_Pl
; %bb.0:
	s_clause 0x1
	s_load_b32 s24, s[0:1], 0x0
	s_load_b32 s4, s[0:1], 0x6c
	v_mov_b32_e32 v2, 0
	s_delay_alu instid0(VALU_DEP_1)
	v_mov_b32_e32 v1, v2
	s_waitcnt lgkmcnt(0)
	s_ashr_i32 s25, s24, 31
	s_add_u32 s2, s0, 0x60
	s_addc_u32 s3, s1, 0
	s_and_b32 s28, s4, 0xffff
	s_mov_b32 s4, exec_lo
	v_mad_u64_u32 v[4:5], null, s28, s15, v[0:1]
	s_delay_alu instid0(VALU_DEP_1)
	v_cmpx_gt_i64_e64 s[24:25], v[4:5]
	s_cbranch_execz .LBB6_15
; %bb.1:
	s_load_b256 s[4:11], s[0:1], 0x28
	s_load_b32 s2, s[2:3], 0x0
	s_clause 0x2
	s_load_b64 s[26:27], s[0:1], 0x48
	s_load_b256 s[12:19], s[0:1], 0x8
	s_load_b128 s[20:23], s[0:1], 0x50
	s_mov_b32 s33, 0
	s_waitcnt lgkmcnt(0)
	s_abs_i32 s42, s5
	s_abs_i32 s44, s4
	v_cvt_f32_u32_e32 v0, s42
	v_cvt_f32_u32_e32 v1, s44
	s_max_u32 s39, s26, 1
	s_max_u32 s40, s27, 1
	v_cvt_f32_u32_e32 v3, s39
	v_rcp_iflag_f32_e32 v0, v0
	v_rcp_iflag_f32_e32 v1, v1
	v_cvt_f32_u32_e32 v6, s40
	s_add_i32 s1, s6, -1
	v_rcp_iflag_f32_e32 v3, v3
	v_cvt_f32_u32_e32 v7, s14
	s_mul_i32 s38, s2, s28
	v_rcp_iflag_f32_e32 v6, v6
	s_mul_i32 s2, s18, s17
	s_mul_i32 s17, s1, s26
	s_delay_alu instid0(TRANS32_DEP_3) | instskip(SKIP_2) | instid1(TRANS32_DEP_3)
	v_dual_mul_f32 v0, 0x4f7ffffe, v0 :: v_dual_mul_f32 v1, 0x4f7ffffe, v1
	s_sub_i32 s1, 0, s42
	v_rcp_iflag_f32_e32 v7, v7
	v_mul_f32_e32 v3, 0x4f7ffffe, v3
	s_delay_alu instid0(VALU_DEP_2)
	v_cvt_u32_f32_e32 v0, v0
	s_sub_i32 s30, 0, s39
	s_waitcnt_depctr 0xfff
	v_mul_f32_e32 v6, 0x4f7ffffe, v6
	v_cvt_u32_f32_e32 v1, v1
	v_cvt_u32_f32_e32 v3, v3
	v_mul_lo_u32 v8, s1, v0
	s_sub_i32 s28, 0, s14
	v_cvt_u32_f32_e32 v6, v6
	s_sub_i32 s29, 0, s44
	v_mul_lo_u32 v10, s30, v3
	s_sub_i32 s31, 0, s40
	v_mul_lo_u32 v9, s29, v1
	v_mul_lo_u32 v11, s31, v6
	v_mul_hi_u32 v8, v0, v8
	v_mul_f32_e32 v7, 0x4f7ffffe, v7
	s_mul_hi_u32 s6, s18, s16
	s_add_i32 s3, s7, -1
	v_mul_hi_u32 v12, v3, v10
	s_mul_i32 s7, s19, s16
	s_add_i32 s1, s6, s2
	v_mul_hi_u32 v9, v1, v9
	v_add_nc_u32_e32 v10, v0, v8
	v_cvt_u32_f32_e32 v7, v7
	v_mul_hi_u32 v13, v6, v11
	s_mul_i32 s0, s18, s16
	s_add_i32 s1, s1, s7
	v_add_nc_u32_e32 v12, v3, v12
	v_mul_lo_u32 v14, s28, v7
	s_lshl_b64 s[6:7], s[0:1], 2
	s_ashr_i32 s0, s26, 31
	s_mul_hi_u32 s1, s18, s26
	s_mul_i32 s0, s18, s0
	v_add_nc_u32_e32 v11, v1, v9
	s_add_i32 s0, s1, s0
	s_mul_i32 s1, s19, s26
	v_mul_hi_u32 v0, v7, v14
	v_add_nc_u32_e32 v13, v6, v13
	s_mul_i32 s45, s3, s27
	s_add_i32 s29, s0, s1
	s_mul_i32 s28, s26, s18
	s_ashr_i32 s1, s27, 31
	s_mov_b32 s0, s27
	s_ashr_i32 s41, s5, 31
	v_add_nc_u32_e32 v14, v7, v0
	s_ashr_i32 s43, s4, 31
	s_add_i32 s17, s17, 1
	s_add_i32 s45, s45, 1
	s_sub_i32 s46, 0, s10
	s_sub_i32 s47, 0, s11
	s_lshl_b64 s[30:31], s[28:29], 2
	s_lshl_b64 s[34:35], s[0:1], 2
	s_ashr_i32 s36, s15, 31
	s_branch .LBB6_4
.LBB6_2:                                ;   in Loop: Header=BB6_4 Depth=1
	s_set_inst_prefetch_distance 0x2
	s_or_b32 exec_lo, exec_lo, s29
.LBB6_3:                                ;   in Loop: Header=BB6_4 Depth=1
	s_delay_alu instid0(SALU_CYCLE_1) | instskip(SKIP_4) | instid1(VALU_DEP_3)
	s_or_b32 exec_lo, exec_lo, s3
	v_ashrrev_i32_e32 v7, 31, v4
	v_mov_b32_e32 v6, v4
	v_add_co_u32 v4, vcc_lo, v4, s38
	v_add_co_ci_u32_e32 v5, vcc_lo, 0, v5, vcc_lo
	v_lshlrev_b64 v[8:9], 2, v[6:7]
	v_lshlrev_b64 v[6:7], 3, v[6:7]
	v_ashrrev_i32_e32 v1, 31, v0
	s_delay_alu instid0(VALU_DEP_3) | instskip(NEXT) | instid1(VALU_DEP_4)
	v_add_co_u32 v8, vcc_lo, s20, v8
	v_add_co_ci_u32_e32 v9, vcc_lo, s21, v9, vcc_lo
	v_cmp_le_i64_e32 vcc_lo, s[24:25], v[4:5]
	v_add_co_u32 v6, s0, s22, v6
	s_delay_alu instid0(VALU_DEP_1) | instskip(SKIP_3) | instid1(SALU_CYCLE_1)
	v_add_co_ci_u32_e64 v7, s0, s23, v7, s0
	global_store_b32 v[8:9], v17, off
	global_store_b64 v[6:7], v[0:1], off
	s_or_b32 s33, vcc_lo, s33
	s_and_not1_b32 exec_lo, exec_lo, s33
	s_cbranch_execz .LBB6_15
.LBB6_4:                                ; =>This Loop Header: Depth=1
                                        ;     Child Loop BB6_11 Depth 2
                                        ;       Child Loop BB6_13 Depth 3
	v_sub_nc_u32_e32 v0, 0, v4
	s_mov_b32 s0, exec_lo
	s_delay_alu instid0(VALU_DEP_1) | instskip(NEXT) | instid1(VALU_DEP_1)
	v_max_i32_e32 v0, v4, v0
	v_mul_hi_u32 v1, v0, v10
	s_delay_alu instid0(VALU_DEP_1) | instskip(NEXT) | instid1(VALU_DEP_1)
	v_mul_lo_u32 v3, v1, s42
	v_sub_nc_u32_e32 v0, v0, v3
	s_delay_alu instid0(VALU_DEP_1) | instskip(SKIP_1) | instid1(VALU_DEP_2)
	v_subrev_nc_u32_e32 v6, s42, v0
	v_cmp_le_u32_e32 vcc_lo, s42, v0
	v_dual_cndmask_b32 v0, v0, v6 :: v_dual_add_nc_u32 v3, 1, v1
	s_delay_alu instid0(VALU_DEP_1) | instskip(SKIP_1) | instid1(VALU_DEP_3)
	v_cndmask_b32_e32 v1, v1, v3, vcc_lo
	v_ashrrev_i32_e32 v3, 31, v4
	v_cmp_le_u32_e32 vcc_lo, s42, v0
	s_delay_alu instid0(VALU_DEP_3) | instskip(NEXT) | instid1(VALU_DEP_3)
	v_add_nc_u32_e32 v6, 1, v1
	v_xor_b32_e32 v3, s41, v3
	s_delay_alu instid0(VALU_DEP_2) | instskip(NEXT) | instid1(VALU_DEP_1)
	v_cndmask_b32_e32 v0, v1, v6, vcc_lo
	v_xor_b32_e32 v0, v0, v3
	s_delay_alu instid0(VALU_DEP_1) | instskip(NEXT) | instid1(VALU_DEP_1)
	v_sub_nc_u32_e32 v0, v0, v3
	v_sub_nc_u32_e32 v1, 0, v0
	s_delay_alu instid0(VALU_DEP_1) | instskip(NEXT) | instid1(VALU_DEP_1)
	v_max_i32_e32 v1, v0, v1
	v_mul_hi_u32 v3, v1, v11
	s_delay_alu instid0(VALU_DEP_1) | instskip(NEXT) | instid1(VALU_DEP_1)
	v_mul_lo_u32 v6, v3, s44
	v_sub_nc_u32_e32 v1, v1, v6
	v_add_nc_u32_e32 v6, 1, v3
	s_delay_alu instid0(VALU_DEP_2) | instskip(SKIP_1) | instid1(VALU_DEP_3)
	v_subrev_nc_u32_e32 v7, s44, v1
	v_cmp_le_u32_e32 vcc_lo, s44, v1
	v_cndmask_b32_e32 v3, v3, v6, vcc_lo
	s_delay_alu instid0(VALU_DEP_3) | instskip(SKIP_1) | instid1(VALU_DEP_3)
	v_cndmask_b32_e32 v1, v1, v7, vcc_lo
	v_ashrrev_i32_e32 v6, 31, v0
	v_add_nc_u32_e32 v7, 1, v3
	s_delay_alu instid0(VALU_DEP_3) | instskip(NEXT) | instid1(VALU_DEP_3)
	v_cmp_le_u32_e32 vcc_lo, s44, v1
	v_xor_b32_e32 v6, s43, v6
	s_delay_alu instid0(VALU_DEP_3) | instskip(NEXT) | instid1(VALU_DEP_1)
	v_cndmask_b32_e32 v1, v3, v7, vcc_lo
	v_xor_b32_e32 v1, v1, v6
	s_delay_alu instid0(VALU_DEP_1) | instskip(NEXT) | instid1(VALU_DEP_1)
	v_sub_nc_u32_e32 v8, v1, v6
                                        ; implicit-def: $vgpr6_vgpr7
	v_ashrrev_i32_e32 v9, 31, v8
	s_delay_alu instid0(VALU_DEP_1) | instskip(NEXT) | instid1(VALU_DEP_1)
	v_or_b32_e32 v3, s15, v9
	v_cmpx_ne_u64_e32 0, v[2:3]
	s_xor_b32 s1, exec_lo, s0
	s_cbranch_execz .LBB6_6
; %bb.5:                                ;   in Loop: Header=BB6_4 Depth=1
	s_add_u32 s2, s14, s36
	s_mov_b32 s37, s36
	s_addc_u32 s3, s15, s36
	v_mov_b32_e32 v20, v9
	s_xor_b64 s[2:3], s[2:3], s[36:37]
	s_delay_alu instid0(SALU_CYCLE_1) | instskip(SKIP_3) | instid1(VALU_DEP_1)
	v_cvt_f32_u32_e32 v1, s2
	v_cvt_f32_u32_e32 v3, s3
	s_sub_u32 s0, 0, s2
	s_subb_u32 s29, 0, s3
	v_fmac_f32_e32 v1, 0x4f800000, v3
	s_delay_alu instid0(VALU_DEP_1) | instskip(SKIP_2) | instid1(VALU_DEP_1)
	v_rcp_f32_e32 v1, v1
	s_waitcnt_depctr 0xfff
	v_mul_f32_e32 v1, 0x5f7ffffc, v1
	v_mul_f32_e32 v3, 0x2f800000, v1
	s_delay_alu instid0(VALU_DEP_1) | instskip(NEXT) | instid1(VALU_DEP_1)
	v_trunc_f32_e32 v3, v3
	v_fmac_f32_e32 v1, 0xcf800000, v3
	v_cvt_u32_f32_e32 v3, v3
	s_delay_alu instid0(VALU_DEP_2) | instskip(NEXT) | instid1(VALU_DEP_2)
	v_cvt_u32_f32_e32 v1, v1
	v_mul_lo_u32 v6, s0, v3
	s_delay_alu instid0(VALU_DEP_2) | instskip(SKIP_1) | instid1(VALU_DEP_2)
	v_mul_hi_u32 v7, s0, v1
	v_mul_lo_u32 v15, s29, v1
	v_add_nc_u32_e32 v6, v7, v6
	v_mul_lo_u32 v7, s0, v1
	s_delay_alu instid0(VALU_DEP_2) | instskip(NEXT) | instid1(VALU_DEP_2)
	v_add_nc_u32_e32 v6, v6, v15
	v_mul_hi_u32 v15, v1, v7
	s_delay_alu instid0(VALU_DEP_2)
	v_mul_lo_u32 v16, v1, v6
	v_mul_hi_u32 v17, v1, v6
	v_mul_hi_u32 v18, v3, v7
	v_mul_lo_u32 v7, v3, v7
	v_mul_hi_u32 v19, v3, v6
	v_mul_lo_u32 v6, v3, v6
	v_add_co_u32 v15, vcc_lo, v15, v16
	v_add_co_ci_u32_e32 v16, vcc_lo, 0, v17, vcc_lo
	s_delay_alu instid0(VALU_DEP_2) | instskip(NEXT) | instid1(VALU_DEP_2)
	v_add_co_u32 v7, vcc_lo, v15, v7
	v_add_co_ci_u32_e32 v7, vcc_lo, v16, v18, vcc_lo
	v_add_co_ci_u32_e32 v15, vcc_lo, 0, v19, vcc_lo
	v_mov_b32_e32 v19, v9
	s_delay_alu instid0(VALU_DEP_3) | instskip(NEXT) | instid1(VALU_DEP_3)
	v_add_co_u32 v6, vcc_lo, v7, v6
	v_add_co_ci_u32_e32 v7, vcc_lo, 0, v15, vcc_lo
	s_delay_alu instid0(VALU_DEP_2) | instskip(NEXT) | instid1(VALU_DEP_2)
	v_add_co_u32 v1, vcc_lo, v1, v6
	v_add_co_ci_u32_e32 v3, vcc_lo, v3, v7, vcc_lo
	s_delay_alu instid0(VALU_DEP_2) | instskip(SKIP_1) | instid1(VALU_DEP_3)
	v_mul_hi_u32 v6, s0, v1
	v_mul_lo_u32 v15, s29, v1
	v_mul_lo_u32 v7, s0, v3
	s_delay_alu instid0(VALU_DEP_1) | instskip(SKIP_1) | instid1(VALU_DEP_2)
	v_add_nc_u32_e32 v6, v6, v7
	v_mul_lo_u32 v7, s0, v1
	v_add_nc_u32_e32 v6, v6, v15
	s_delay_alu instid0(VALU_DEP_2) | instskip(NEXT) | instid1(VALU_DEP_2)
	v_mul_hi_u32 v15, v1, v7
	v_mul_lo_u32 v16, v1, v6
	v_mul_hi_u32 v17, v1, v6
	v_mul_hi_u32 v18, v3, v7
	v_mul_lo_u32 v7, v3, v7
	v_mul_hi_u32 v21, v3, v6
	v_mul_lo_u32 v6, v3, v6
	v_add_co_u32 v15, vcc_lo, v15, v16
	v_add_co_ci_u32_e32 v16, vcc_lo, 0, v17, vcc_lo
	s_delay_alu instid0(VALU_DEP_2) | instskip(NEXT) | instid1(VALU_DEP_2)
	v_add_co_u32 v7, vcc_lo, v15, v7
	v_add_co_ci_u32_e32 v7, vcc_lo, v16, v18, vcc_lo
	v_add_co_ci_u32_e32 v15, vcc_lo, 0, v21, vcc_lo
	v_add_co_u32 v16, vcc_lo, v8, v19
	v_add_co_ci_u32_e32 v17, vcc_lo, v9, v20, vcc_lo
	s_delay_alu instid0(VALU_DEP_4) | instskip(NEXT) | instid1(VALU_DEP_4)
	v_add_co_u32 v6, vcc_lo, v7, v6
	v_add_co_ci_u32_e32 v7, vcc_lo, 0, v15, vcc_lo
	s_delay_alu instid0(VALU_DEP_4) | instskip(NEXT) | instid1(VALU_DEP_3)
	v_xor_b32_e32 v21, v16, v19
	v_add_co_u32 v1, vcc_lo, v1, v6
	s_delay_alu instid0(VALU_DEP_3) | instskip(SKIP_1) | instid1(VALU_DEP_3)
	v_add_co_ci_u32_e32 v3, vcc_lo, v3, v7, vcc_lo
	v_xor_b32_e32 v22, v17, v20
	v_mul_hi_u32 v23, v21, v1
	s_delay_alu instid0(VALU_DEP_3) | instskip(NEXT) | instid1(VALU_DEP_3)
	v_mad_u64_u32 v[6:7], null, v21, v3, 0
	v_mad_u64_u32 v[15:16], null, v22, v1, 0
	;; [unrolled: 1-line block ×3, first 2 shown]
	s_delay_alu instid0(VALU_DEP_3) | instskip(NEXT) | instid1(VALU_DEP_4)
	v_add_co_u32 v1, vcc_lo, v23, v6
	v_add_co_ci_u32_e32 v3, vcc_lo, 0, v7, vcc_lo
	s_delay_alu instid0(VALU_DEP_2) | instskip(NEXT) | instid1(VALU_DEP_2)
	v_add_co_u32 v1, vcc_lo, v1, v15
	v_add_co_ci_u32_e32 v1, vcc_lo, v3, v16, vcc_lo
	v_add_co_ci_u32_e32 v3, vcc_lo, 0, v18, vcc_lo
	s_delay_alu instid0(VALU_DEP_2) | instskip(NEXT) | instid1(VALU_DEP_2)
	v_add_co_u32 v1, vcc_lo, v1, v17
	v_add_co_ci_u32_e32 v3, vcc_lo, 0, v3, vcc_lo
	s_delay_alu instid0(VALU_DEP_2) | instskip(SKIP_1) | instid1(VALU_DEP_3)
	v_mul_lo_u32 v15, s3, v1
	v_mad_u64_u32 v[6:7], null, s2, v1, 0
	v_mul_lo_u32 v16, s2, v3
	s_delay_alu instid0(VALU_DEP_2) | instskip(NEXT) | instid1(VALU_DEP_2)
	v_sub_co_u32 v6, vcc_lo, v21, v6
	v_add3_u32 v7, v7, v16, v15
	s_delay_alu instid0(VALU_DEP_1) | instskip(NEXT) | instid1(VALU_DEP_1)
	v_sub_nc_u32_e32 v15, v22, v7
	v_subrev_co_ci_u32_e64 v15, s0, s3, v15, vcc_lo
	v_add_co_u32 v16, s0, v1, 2
	s_delay_alu instid0(VALU_DEP_1) | instskip(SKIP_3) | instid1(VALU_DEP_3)
	v_add_co_ci_u32_e64 v17, s0, 0, v3, s0
	v_sub_co_u32 v18, s0, v6, s2
	v_sub_co_ci_u32_e32 v7, vcc_lo, v22, v7, vcc_lo
	v_subrev_co_ci_u32_e64 v15, s0, 0, v15, s0
	v_cmp_le_u32_e32 vcc_lo, s2, v18
	s_delay_alu instid0(VALU_DEP_3) | instskip(SKIP_1) | instid1(VALU_DEP_4)
	v_cmp_eq_u32_e64 s0, s3, v7
	v_cndmask_b32_e64 v18, 0, -1, vcc_lo
	v_cmp_le_u32_e32 vcc_lo, s3, v15
	v_cndmask_b32_e64 v21, 0, -1, vcc_lo
	v_cmp_le_u32_e32 vcc_lo, s2, v6
	;; [unrolled: 2-line block ×3, first 2 shown]
	v_cndmask_b32_e64 v22, 0, -1, vcc_lo
	v_cmp_eq_u32_e32 vcc_lo, s3, v15
	s_delay_alu instid0(VALU_DEP_2) | instskip(SKIP_3) | instid1(VALU_DEP_3)
	v_cndmask_b32_e64 v6, v22, v6, s0
	v_cndmask_b32_e32 v15, v21, v18, vcc_lo
	v_add_co_u32 v18, vcc_lo, v1, 1
	v_add_co_ci_u32_e32 v21, vcc_lo, 0, v3, vcc_lo
	v_cmp_ne_u32_e32 vcc_lo, 0, v15
	s_delay_alu instid0(VALU_DEP_2) | instskip(NEXT) | instid1(VALU_DEP_4)
	v_cndmask_b32_e32 v7, v21, v17, vcc_lo
	v_cndmask_b32_e32 v15, v18, v16, vcc_lo
	v_cmp_ne_u32_e32 vcc_lo, 0, v6
	v_xor_b32_e32 v6, s36, v19
	s_delay_alu instid0(VALU_DEP_3) | instskip(SKIP_2) | instid1(VALU_DEP_3)
	v_cndmask_b32_e32 v1, v1, v15, vcc_lo
	v_cndmask_b32_e32 v3, v3, v7, vcc_lo
	v_xor_b32_e32 v7, s36, v20
	v_xor_b32_e32 v1, v1, v6
	s_delay_alu instid0(VALU_DEP_2) | instskip(NEXT) | instid1(VALU_DEP_2)
	v_xor_b32_e32 v3, v3, v7
	v_sub_co_u32 v6, vcc_lo, v1, v6
	s_delay_alu instid0(VALU_DEP_2)
	v_sub_co_ci_u32_e32 v7, vcc_lo, v3, v7, vcc_lo
.LBB6_6:                                ;   in Loop: Header=BB6_4 Depth=1
	s_and_not1_saveexec_b32 s0, s1
; %bb.7:                                ;   in Loop: Header=BB6_4 Depth=1
	v_mul_hi_u32 v1, v8, v14
	s_delay_alu instid0(VALU_DEP_1) | instskip(NEXT) | instid1(VALU_DEP_1)
	v_mul_lo_u32 v3, v1, s14
	v_sub_nc_u32_e32 v3, v8, v3
	s_delay_alu instid0(VALU_DEP_1) | instskip(SKIP_1) | instid1(VALU_DEP_2)
	v_subrev_nc_u32_e32 v7, s14, v3
	v_cmp_le_u32_e32 vcc_lo, s14, v3
	v_dual_cndmask_b32 v3, v3, v7 :: v_dual_add_nc_u32 v6, 1, v1
	s_delay_alu instid0(VALU_DEP_1) | instskip(SKIP_1) | instid1(VALU_DEP_3)
	v_cndmask_b32_e32 v1, v1, v6, vcc_lo
	v_mov_b32_e32 v7, v2
	v_cmp_le_u32_e32 vcc_lo, s14, v3
	s_delay_alu instid0(VALU_DEP_3) | instskip(NEXT) | instid1(VALU_DEP_1)
	v_add_nc_u32_e32 v6, 1, v1
	v_cndmask_b32_e32 v6, v1, v6, vcc_lo
; %bb.8:                                ;   in Loop: Header=BB6_4 Depth=1
	s_or_b32 exec_lo, exec_lo, s0
	v_mul_lo_u32 v1, v8, s4
	v_mul_lo_u32 v3, v0, s5
	s_mov_b32 s3, exec_lo
	s_delay_alu instid0(VALU_DEP_2) | instskip(NEXT) | instid1(VALU_DEP_2)
	v_sub_nc_u32_e32 v0, v0, v1
	v_sub_nc_u32_e32 v1, v4, v3
	s_delay_alu instid0(VALU_DEP_2) | instskip(NEXT) | instid1(VALU_DEP_2)
	v_mul_lo_u32 v20, v0, s8
	v_mul_lo_u32 v19, v1, s9
	s_delay_alu instid0(VALU_DEP_2) | instskip(NEXT) | instid1(VALU_DEP_2)
	v_subrev_nc_u32_e32 v0, s10, v20
	v_subrev_nc_u32_e32 v18, s11, v19
	s_delay_alu instid0(VALU_DEP_2) | instskip(NEXT) | instid1(VALU_DEP_2)
	v_max_i32_e32 v1, 0, v0
	v_max_i32_e32 v3, 0, v18
	s_delay_alu instid0(VALU_DEP_2) | instskip(NEXT) | instid1(VALU_DEP_2)
	v_add_nc_u32_e32 v1, s10, v1
	v_add_nc_u32_e32 v3, s11, v3
	s_delay_alu instid0(VALU_DEP_2) | instskip(NEXT) | instid1(VALU_DEP_2)
	v_cmp_ne_u32_e32 vcc_lo, v1, v20
	v_cmp_ne_u32_e64 s0, v3, v19
	v_cndmask_b32_e64 v15, 0, 1, vcc_lo
	s_delay_alu instid0(VALU_DEP_2) | instskip(NEXT) | instid1(VALU_DEP_2)
	v_cndmask_b32_e64 v16, 0, 1, s0
	v_add_nc_u32_e32 v15, v20, v15
	s_delay_alu instid0(VALU_DEP_2) | instskip(NEXT) | instid1(VALU_DEP_2)
	v_add_nc_u32_e32 v16, v19, v16
	v_sub_nc_u32_e32 v1, v1, v15
	s_delay_alu instid0(VALU_DEP_1) | instskip(NEXT) | instid1(VALU_DEP_1)
	v_mul_hi_u32 v15, v1, v12
	v_mul_lo_u32 v17, v15, s39
	s_delay_alu instid0(VALU_DEP_1) | instskip(SKIP_1) | instid1(VALU_DEP_2)
	v_sub_nc_u32_e32 v1, v1, v17
	v_add_nc_u32_e32 v17, 1, v15
	v_cmp_le_u32_e64 s1, s39, v1
	s_delay_alu instid0(VALU_DEP_1) | instskip(SKIP_1) | instid1(VALU_DEP_1)
	v_cndmask_b32_e64 v15, v15, v17, s1
	v_subrev_nc_u32_e32 v17, s39, v1
	v_cndmask_b32_e64 v1, v1, v17, s1
	s_delay_alu instid0(VALU_DEP_3) | instskip(NEXT) | instid1(VALU_DEP_2)
	v_add_nc_u32_e32 v17, 1, v15
	v_cmp_le_u32_e64 s1, s39, v1
	s_delay_alu instid0(VALU_DEP_1) | instskip(SKIP_2) | instid1(VALU_DEP_3)
	v_cndmask_b32_e64 v1, v15, v17, s1
	v_mov_b32_e32 v17, 0xff800000
	v_sub_nc_u32_e32 v3, v3, v16
	v_add_co_ci_u32_e32 v1, vcc_lo, 0, v1, vcc_lo
	s_delay_alu instid0(VALU_DEP_2) | instskip(NEXT) | instid1(VALU_DEP_1)
	v_mul_hi_u32 v16, v3, v13
	v_mul_lo_u32 v21, v16, s40
	s_delay_alu instid0(VALU_DEP_1) | instskip(SKIP_1) | instid1(VALU_DEP_2)
	v_sub_nc_u32_e32 v3, v3, v21
	v_add_nc_u32_e32 v21, 1, v16
	v_subrev_nc_u32_e32 v22, s40, v3
	v_cmp_le_u32_e64 s2, s40, v3
	s_delay_alu instid0(VALU_DEP_1) | instskip(NEXT) | instid1(VALU_DEP_3)
	v_cndmask_b32_e64 v16, v16, v21, s2
	v_cndmask_b32_e64 v3, v3, v22, s2
	v_mul_lo_u32 v22, v1, s26
	v_add_nc_u32_e32 v1, s17, v0
	s_delay_alu instid0(VALU_DEP_4) | instskip(NEXT) | instid1(VALU_DEP_4)
	v_add_nc_u32_e32 v21, 1, v16
	v_cmp_le_u32_e64 s1, s40, v3
	s_delay_alu instid0(VALU_DEP_4) | instskip(NEXT) | instid1(VALU_DEP_2)
	v_add_nc_u32_e32 v15, v0, v22
	v_cndmask_b32_e64 v3, v16, v21, s1
	v_min_i32_e32 v16, s16, v1
	s_delay_alu instid0(VALU_DEP_2) | instskip(NEXT) | instid1(VALU_DEP_1)
	v_add_co_ci_u32_e64 v3, vcc_lo, 0, v3, s0
	v_mul_lo_u32 v21, v3, s27
	s_delay_alu instid0(VALU_DEP_1) | instskip(NEXT) | instid1(VALU_DEP_1)
	v_add_nc_u32_e32 v3, v18, v21
	v_mad_u64_u32 v[0:1], null, v15, s18, v[3:4]
	v_cmpx_lt_i32_e64 v15, v16
	s_cbranch_execz .LBB6_3
; %bb.9:                                ;   in Loop: Header=BB6_4 Depth=1
	v_mul_lo_u32 v1, v7, s14
	v_mul_lo_u32 v17, v6, s15
	v_add3_u32 v25, s46, v20, v22
	v_mad_u64_u32 v[22:23], null, v6, s14, 0
	v_add3_u32 v19, s47, v19, v21
	s_mov_b32 s29, 0
	s_delay_alu instid0(VALU_DEP_3) | instskip(SKIP_1) | instid1(VALU_DEP_3)
	v_ashrrev_i32_e32 v7, 31, v25
	v_mul_lo_u32 v26, s19, v25
	v_ashrrev_i32_e32 v20, 31, v19
	v_add3_u32 v1, v23, v17, v1
	s_delay_alu instid0(VALU_DEP_4) | instskip(SKIP_1) | instid1(VALU_DEP_4)
	v_mul_lo_u32 v21, s18, v7
	v_sub_co_u32 v7, vcc_lo, v8, v22
	v_mad_u64_u32 v[23:24], null, s18, v25, v[19:20]
	s_delay_alu instid0(VALU_DEP_4) | instskip(SKIP_1) | instid1(VALU_DEP_2)
	v_sub_co_ci_u32_e32 v8, vcc_lo, v9, v1, vcc_lo
	v_ashrrev_i32_e32 v1, 31, v6
	v_mad_u64_u32 v[19:20], null, v6, s14, v[7:8]
	s_delay_alu instid0(VALU_DEP_2) | instskip(SKIP_1) | instid1(VALU_DEP_1)
	v_mul_lo_u32 v1, v1, s14
	v_add3_u32 v24, v26, v24, v21
	v_lshlrev_b64 v[6:7], 2, v[23:24]
	s_delay_alu instid0(VALU_DEP_3)
	v_add3_u32 v1, v1, v20, v17
	v_mul_lo_u32 v20, s7, v19
	v_add_nc_u32_e32 v17, s45, v18
	v_mul_lo_u32 v18, s18, v25
	v_mad_u64_u32 v[8:9], null, s6, v19, v[6:7]
	v_mul_lo_u32 v6, s6, v1
	s_delay_alu instid0(VALU_DEP_4) | instskip(SKIP_1) | instid1(VALU_DEP_2)
	v_min_i32_e32 v1, s18, v17
	v_mov_b32_e32 v17, 0xff800000
	v_cmp_lt_i32_e32 vcc_lo, v3, v1
	s_delay_alu instid0(VALU_DEP_4) | instskip(SKIP_1) | instid1(VALU_DEP_1)
	v_add3_u32 v7, v20, v9, v6
	v_add_co_u32 v6, s0, s12, v8
	v_add_co_ci_u32_e64 v7, s0, s13, v7, s0
	s_set_inst_prefetch_distance 0x1
	s_branch .LBB6_11
	.p2align	6
.LBB6_10:                               ;   in Loop: Header=BB6_11 Depth=2
	s_or_b32 exec_lo, exec_lo, s37
	v_add_nc_u32_e32 v15, s26, v15
	v_add_co_u32 v6, s1, v6, s30
	s_delay_alu instid0(VALU_DEP_1) | instskip(NEXT) | instid1(VALU_DEP_3)
	v_add_co_ci_u32_e64 v7, s1, s31, v7, s1
	v_cmp_ge_i32_e64 s0, v15, v16
	v_add_nc_u32_e32 v18, s28, v18
	s_delay_alu instid0(VALU_DEP_2) | instskip(NEXT) | instid1(SALU_CYCLE_1)
	s_or_b32 s29, s0, s29
	s_and_not1_b32 exec_lo, exec_lo, s29
	s_cbranch_execz .LBB6_2
.LBB6_11:                               ;   Parent Loop BB6_4 Depth=1
                                        ; =>  This Loop Header: Depth=2
                                        ;       Child Loop BB6_13 Depth 3
	s_and_saveexec_b32 s37, vcc_lo
	s_cbranch_execz .LBB6_10
; %bb.12:                               ;   in Loop: Header=BB6_11 Depth=2
	v_dual_mov_b32 v9, v7 :: v_dual_mov_b32 v8, v6
	v_mov_b32_e32 v19, v3
	s_mov_b32 s48, 0
	.p2align	6
.LBB6_13:                               ;   Parent Loop BB6_4 Depth=1
                                        ;     Parent Loop BB6_11 Depth=2
                                        ; =>    This Inner Loop Header: Depth=3
	global_load_b32 v20, v[8:9], off
	v_add_nc_u32_e32 v21, v18, v19
	v_add_nc_u32_e32 v19, s27, v19
	v_add_co_u32 v8, s2, v8, s34
	s_delay_alu instid0(VALU_DEP_1) | instskip(NEXT) | instid1(VALU_DEP_3)
	v_add_co_ci_u32_e64 v9, s2, s35, v9, s2
	v_cmp_ge_i32_e64 s2, v19, v1
	s_waitcnt vmcnt(0)
	v_cmp_gt_f32_e64 s0, v20, v17
	v_cmp_u_f32_e64 s1, v20, v20
	s_delay_alu instid0(VALU_DEP_1)
	s_or_b32 s0, s0, s1
	s_or_b32 s48, s2, s48
	v_cndmask_b32_e64 v17, v17, v20, s0
	v_cndmask_b32_e64 v0, v0, v21, s0
	s_and_not1_b32 exec_lo, exec_lo, s48
	s_cbranch_execnz .LBB6_13
; %bb.14:                               ;   in Loop: Header=BB6_11 Depth=2
	s_or_b32 exec_lo, exec_lo, s48
	s_branch .LBB6_10
.LBB6_15:
	s_nop 0
	s_sendmsg sendmsg(MSG_DEALLOC_VGPRS)
	s_endpgm
	.section	.rodata,"a",@progbits
	.p2align	6, 0x0
	.amdhsa_kernel _ZN2at6native12_GLOBAL__N_121max_pool_forward_nchwIfiEEvT0_PKT_llliiiiiiiiiiPS4_Pl
		.amdhsa_group_segment_fixed_size 0
		.amdhsa_private_segment_fixed_size 0
		.amdhsa_kernarg_size 352
		.amdhsa_user_sgpr_count 15
		.amdhsa_user_sgpr_dispatch_ptr 0
		.amdhsa_user_sgpr_queue_ptr 0
		.amdhsa_user_sgpr_kernarg_segment_ptr 1
		.amdhsa_user_sgpr_dispatch_id 0
		.amdhsa_user_sgpr_private_segment_size 0
		.amdhsa_wavefront_size32 1
		.amdhsa_uses_dynamic_stack 0
		.amdhsa_enable_private_segment 0
		.amdhsa_system_sgpr_workgroup_id_x 1
		.amdhsa_system_sgpr_workgroup_id_y 0
		.amdhsa_system_sgpr_workgroup_id_z 0
		.amdhsa_system_sgpr_workgroup_info 0
		.amdhsa_system_vgpr_workitem_id 0
		.amdhsa_next_free_vgpr 27
		.amdhsa_next_free_sgpr 49
		.amdhsa_reserve_vcc 1
		.amdhsa_float_round_mode_32 0
		.amdhsa_float_round_mode_16_64 0
		.amdhsa_float_denorm_mode_32 3
		.amdhsa_float_denorm_mode_16_64 3
		.amdhsa_dx10_clamp 1
		.amdhsa_ieee_mode 1
		.amdhsa_fp16_overflow 0
		.amdhsa_workgroup_processor_mode 1
		.amdhsa_memory_ordered 1
		.amdhsa_forward_progress 0
		.amdhsa_shared_vgpr_count 0
		.amdhsa_exception_fp_ieee_invalid_op 0
		.amdhsa_exception_fp_denorm_src 0
		.amdhsa_exception_fp_ieee_div_zero 0
		.amdhsa_exception_fp_ieee_overflow 0
		.amdhsa_exception_fp_ieee_underflow 0
		.amdhsa_exception_fp_ieee_inexact 0
		.amdhsa_exception_int_div_zero 0
	.end_amdhsa_kernel
	.section	.text._ZN2at6native12_GLOBAL__N_121max_pool_forward_nchwIfiEEvT0_PKT_llliiiiiiiiiiPS4_Pl,"axG",@progbits,_ZN2at6native12_GLOBAL__N_121max_pool_forward_nchwIfiEEvT0_PKT_llliiiiiiiiiiPS4_Pl,comdat
.Lfunc_end6:
	.size	_ZN2at6native12_GLOBAL__N_121max_pool_forward_nchwIfiEEvT0_PKT_llliiiiiiiiiiPS4_Pl, .Lfunc_end6-_ZN2at6native12_GLOBAL__N_121max_pool_forward_nchwIfiEEvT0_PKT_llliiiiiiiiiiPS4_Pl
                                        ; -- End function
	.section	.AMDGPU.csdata,"",@progbits
; Kernel info:
; codeLenInByte = 2636
; NumSgprs: 51
; NumVgprs: 27
; ScratchSize: 0
; MemoryBound: 0
; FloatMode: 240
; IeeeMode: 1
; LDSByteSize: 0 bytes/workgroup (compile time only)
; SGPRBlocks: 6
; VGPRBlocks: 3
; NumSGPRsForWavesPerEU: 51
; NumVGPRsForWavesPerEU: 27
; Occupancy: 16
; WaveLimiterHint : 0
; COMPUTE_PGM_RSRC2:SCRATCH_EN: 0
; COMPUTE_PGM_RSRC2:USER_SGPR: 15
; COMPUTE_PGM_RSRC2:TRAP_HANDLER: 0
; COMPUTE_PGM_RSRC2:TGID_X_EN: 1
; COMPUTE_PGM_RSRC2:TGID_Y_EN: 0
; COMPUTE_PGM_RSRC2:TGID_Z_EN: 0
; COMPUTE_PGM_RSRC2:TIDIG_COMP_CNT: 0
	.section	.text._ZN2at6native12_GLOBAL__N_121max_pool_forward_nchwIflEEvT0_PKT_llliiiiiiiiiiPS4_Pl,"axG",@progbits,_ZN2at6native12_GLOBAL__N_121max_pool_forward_nchwIflEEvT0_PKT_llliiiiiiiiiiPS4_Pl,comdat
	.globl	_ZN2at6native12_GLOBAL__N_121max_pool_forward_nchwIflEEvT0_PKT_llliiiiiiiiiiPS4_Pl ; -- Begin function _ZN2at6native12_GLOBAL__N_121max_pool_forward_nchwIflEEvT0_PKT_llliiiiiiiiiiPS4_Pl
	.p2align	8
	.type	_ZN2at6native12_GLOBAL__N_121max_pool_forward_nchwIflEEvT0_PKT_llliiiiiiiiiiPS4_Pl,@function
_ZN2at6native12_GLOBAL__N_121max_pool_forward_nchwIflEEvT0_PKT_llliiiiiiiiiiPS4_Pl: ; @_ZN2at6native12_GLOBAL__N_121max_pool_forward_nchwIflEEvT0_PKT_llliiiiiiiiiiPS4_Pl
; %bb.0:
	s_clause 0x1
	s_load_b32 s4, s[0:1], 0x6c
	s_load_b128 s[16:19], s[0:1], 0x0
	v_mov_b32_e32 v2, 0
	s_add_u32 s2, s0, 0x60
	s_addc_u32 s3, s1, 0
	s_delay_alu instid0(VALU_DEP_1) | instskip(SKIP_3) | instid1(VALU_DEP_1)
	v_mov_b32_e32 v1, v2
	s_waitcnt lgkmcnt(0)
	s_and_b32 s26, s4, 0xffff
	s_mov_b32 s4, exec_lo
	v_mad_u64_u32 v[4:5], null, s26, s15, v[0:1]
	s_delay_alu instid0(VALU_DEP_1)
	v_cmpx_gt_i64_e64 s[16:17], v[4:5]
	s_cbranch_execz .LBB7_27
; %bb.1:
	s_clause 0x3
	s_load_b256 s[4:11], s[0:1], 0x28
	s_load_b64 s[24:25], s[0:1], 0x48
	s_load_b128 s[12:15], s[0:1], 0x18
	s_load_b128 s[20:23], s[0:1], 0x50
	s_load_b32 s0, s[2:3], 0x0
	s_mov_b32 s47, 0
	s_waitcnt lgkmcnt(0)
	v_cvt_f32_u32_e32 v0, s5
	s_add_i32 s1, s6, -1
	s_add_i32 s2, s7, -1
	s_ashr_i32 s7, s24, 31
	s_mov_b32 s6, s24
	v_rcp_iflag_f32_e32 v0, v0
	s_ashr_i32 s33, s8, 31
	s_mov_b32 s34, s8
	s_ashr_i32 s37, s9, 31
	s_mov_b32 s38, s9
	;; [unrolled: 2-line block ×3, first 2 shown]
	s_mul_i32 s41, s1, s24
	v_cmp_gt_u64_e64 s1, s[6:7], 1
	s_mul_i32 s42, s2, s25
	v_cmp_gt_u64_e64 s2, s[8:9], 1
	s_ashr_i32 s30, s5, 31
	s_ashr_i32 s31, s4, 31
	;; [unrolled: 1-line block ×4, first 2 shown]
	s_add_i32 s41, s41, 1
	s_add_i32 s42, s42, 1
	s_and_b32 s1, s1, exec_lo
	s_waitcnt_depctr 0xfff
	v_mul_f32_e32 v0, 0x4f7ffffe, v0
	s_cselect_b32 s43, s7, 0
	s_cselect_b32 s44, s24, 1
	s_and_b32 s1, s2, exec_lo
	s_mul_i32 s1, s14, s13
	s_mul_hi_u32 s2, s14, s12
	s_cselect_b32 s45, s9, 0
	s_cselect_b32 s13, s25, 1
	s_add_i32 s1, s2, s1
	s_mul_i32 s2, s15, s12
	v_cvt_u32_f32_e32 v18, v0
	s_mul_i32 s46, s0, s26
	s_add_i32 s1, s1, s2
	s_mul_i32 s0, s14, s12
	s_mov_b32 s36, s10
	s_mov_b32 s40, s11
	s_lshl_b64 s[10:11], s[0:1], 2
	s_lshl_b64 s[26:27], s[8:9], 2
	s_branch .LBB7_4
.LBB7_2:                                ;   in Loop: Header=BB7_4 Depth=1
	s_or_b32 exec_lo, exec_lo, s28
.LBB7_3:                                ;   in Loop: Header=BB7_4 Depth=1
	s_delay_alu instid0(SALU_CYCLE_1) | instskip(SKIP_4) | instid1(VALU_DEP_4)
	s_or_b32 exec_lo, exec_lo, s3
	v_lshlrev_b64 v[0:1], 2, v[4:5]
	v_lshlrev_b64 v[9:10], 3, v[4:5]
	v_add_co_u32 v4, vcc_lo, v4, s46
	v_add_co_ci_u32_e32 v5, vcc_lo, 0, v5, vcc_lo
	v_add_co_u32 v0, vcc_lo, s20, v0
	v_add_co_ci_u32_e32 v1, vcc_lo, s21, v1, vcc_lo
	s_delay_alu instid0(VALU_DEP_3) | instskip(SKIP_1) | instid1(VALU_DEP_1)
	v_cmp_le_i64_e32 vcc_lo, s[16:17], v[4:5]
	v_add_co_u32 v9, s0, s22, v9
	v_add_co_ci_u32_e64 v10, s0, s23, v10, s0
	global_store_b32 v[0:1], v3, off
	global_store_b64 v[9:10], v[7:8], off
	s_or_b32 s47, vcc_lo, s47
	s_delay_alu instid0(SALU_CYCLE_1)
	s_and_not1_b32 exec_lo, exec_lo, s47
	s_cbranch_execz .LBB7_27
.LBB7_4:                                ; =>This Loop Header: Depth=1
                                        ;     Child Loop BB7_23 Depth 2
                                        ;       Child Loop BB7_25 Depth 3
	v_or_b32_e32 v3, s30, v5
                                        ; implicit-def: $vgpr6_vgpr7
	s_mov_b32 s0, exec_lo
	s_delay_alu instid0(VALU_DEP_1)
	v_cmpx_ne_u64_e32 0, v[2:3]
	s_xor_b32 s1, exec_lo, s0
	s_cbranch_execz .LBB7_6
; %bb.5:                                ;   in Loop: Header=BB7_4 Depth=1
	s_add_u32 s28, s5, s30
	s_mov_b32 s2, s30
	s_mov_b32 s3, s30
	s_addc_u32 s29, s30, s30
	s_delay_alu instid0(SALU_CYCLE_1) | instskip(NEXT) | instid1(SALU_CYCLE_1)
	s_xor_b64 s[28:29], s[28:29], s[2:3]
	v_cvt_f32_u32_e32 v0, s28
	v_cvt_f32_u32_e32 v1, s29
	s_sub_u32 s0, 0, s28
	s_subb_u32 s48, 0, s29
	s_delay_alu instid0(VALU_DEP_1) | instskip(NEXT) | instid1(VALU_DEP_1)
	v_fmac_f32_e32 v0, 0x4f800000, v1
	v_rcp_f32_e32 v0, v0
	s_waitcnt_depctr 0xfff
	v_mul_f32_e32 v0, 0x5f7ffffc, v0
	s_delay_alu instid0(VALU_DEP_1) | instskip(NEXT) | instid1(VALU_DEP_1)
	v_mul_f32_e32 v1, 0x2f800000, v0
	v_trunc_f32_e32 v1, v1
	s_delay_alu instid0(VALU_DEP_1) | instskip(SKIP_1) | instid1(VALU_DEP_2)
	v_fmac_f32_e32 v0, 0xcf800000, v1
	v_cvt_u32_f32_e32 v1, v1
	v_cvt_u32_f32_e32 v0, v0
	s_delay_alu instid0(VALU_DEP_2) | instskip(NEXT) | instid1(VALU_DEP_2)
	v_mul_lo_u32 v3, s0, v1
	v_mul_hi_u32 v6, s0, v0
	v_mul_lo_u32 v7, s48, v0
	s_delay_alu instid0(VALU_DEP_2) | instskip(SKIP_1) | instid1(VALU_DEP_2)
	v_add_nc_u32_e32 v3, v6, v3
	v_mul_lo_u32 v6, s0, v0
	v_add_nc_u32_e32 v3, v3, v7
	s_delay_alu instid0(VALU_DEP_2) | instskip(NEXT) | instid1(VALU_DEP_2)
	v_mul_hi_u32 v7, v0, v6
	v_mul_lo_u32 v8, v0, v3
	v_mul_hi_u32 v9, v0, v3
	v_mul_hi_u32 v10, v1, v6
	v_mul_lo_u32 v6, v1, v6
	v_mul_hi_u32 v11, v1, v3
	v_mul_lo_u32 v3, v1, v3
	v_add_co_u32 v7, vcc_lo, v7, v8
	v_add_co_ci_u32_e32 v8, vcc_lo, 0, v9, vcc_lo
	s_delay_alu instid0(VALU_DEP_2) | instskip(NEXT) | instid1(VALU_DEP_2)
	v_add_co_u32 v6, vcc_lo, v7, v6
	v_add_co_ci_u32_e32 v6, vcc_lo, v8, v10, vcc_lo
	v_add_co_ci_u32_e32 v7, vcc_lo, 0, v11, vcc_lo
	v_ashrrev_i32_e32 v10, 31, v5
	s_delay_alu instid0(VALU_DEP_3) | instskip(NEXT) | instid1(VALU_DEP_3)
	v_add_co_u32 v3, vcc_lo, v6, v3
	v_add_co_ci_u32_e32 v6, vcc_lo, 0, v7, vcc_lo
	s_delay_alu instid0(VALU_DEP_2) | instskip(NEXT) | instid1(VALU_DEP_2)
	v_add_co_u32 v0, vcc_lo, v0, v3
	v_add_co_ci_u32_e32 v1, vcc_lo, v1, v6, vcc_lo
	s_delay_alu instid0(VALU_DEP_2) | instskip(SKIP_1) | instid1(VALU_DEP_3)
	v_mul_hi_u32 v3, s0, v0
	v_mul_lo_u32 v7, s48, v0
	v_mul_lo_u32 v6, s0, v1
	s_delay_alu instid0(VALU_DEP_1) | instskip(SKIP_1) | instid1(VALU_DEP_2)
	v_add_nc_u32_e32 v3, v3, v6
	v_mul_lo_u32 v6, s0, v0
	v_add_nc_u32_e32 v3, v3, v7
	s_delay_alu instid0(VALU_DEP_2) | instskip(NEXT) | instid1(VALU_DEP_2)
	v_mul_hi_u32 v7, v0, v6
	v_mul_lo_u32 v8, v0, v3
	v_mul_hi_u32 v9, v0, v3
	v_mul_hi_u32 v11, v1, v6
	v_mul_lo_u32 v6, v1, v6
	v_mul_hi_u32 v12, v1, v3
	v_mul_lo_u32 v3, v1, v3
	v_add_co_u32 v7, vcc_lo, v7, v8
	v_add_co_ci_u32_e32 v8, vcc_lo, 0, v9, vcc_lo
	s_delay_alu instid0(VALU_DEP_2) | instskip(NEXT) | instid1(VALU_DEP_2)
	v_add_co_u32 v6, vcc_lo, v7, v6
	v_add_co_ci_u32_e32 v6, vcc_lo, v8, v11, vcc_lo
	v_add_co_ci_u32_e32 v7, vcc_lo, 0, v12, vcc_lo
	v_add_co_u32 v8, vcc_lo, v4, v10
	v_add_co_ci_u32_e32 v9, vcc_lo, v5, v10, vcc_lo
	s_delay_alu instid0(VALU_DEP_4) | instskip(NEXT) | instid1(VALU_DEP_4)
	v_add_co_u32 v3, vcc_lo, v6, v3
	v_add_co_ci_u32_e32 v6, vcc_lo, 0, v7, vcc_lo
	s_delay_alu instid0(VALU_DEP_4) | instskip(NEXT) | instid1(VALU_DEP_3)
	v_xor_b32_e32 v11, v8, v10
	v_add_co_u32 v3, vcc_lo, v0, v3
	s_delay_alu instid0(VALU_DEP_3) | instskip(SKIP_1) | instid1(VALU_DEP_3)
	v_add_co_ci_u32_e32 v12, vcc_lo, v1, v6, vcc_lo
	v_xor_b32_e32 v13, v9, v10
	v_mul_hi_u32 v14, v11, v3
	s_delay_alu instid0(VALU_DEP_3) | instskip(NEXT) | instid1(VALU_DEP_3)
	v_mad_u64_u32 v[0:1], null, v11, v12, 0
	v_mad_u64_u32 v[6:7], null, v13, v3, 0
	;; [unrolled: 1-line block ×3, first 2 shown]
	s_delay_alu instid0(VALU_DEP_3) | instskip(NEXT) | instid1(VALU_DEP_4)
	v_add_co_u32 v0, vcc_lo, v14, v0
	v_add_co_ci_u32_e32 v1, vcc_lo, 0, v1, vcc_lo
	s_delay_alu instid0(VALU_DEP_2) | instskip(NEXT) | instid1(VALU_DEP_2)
	v_add_co_u32 v0, vcc_lo, v0, v6
	v_add_co_ci_u32_e32 v0, vcc_lo, v1, v7, vcc_lo
	v_add_co_ci_u32_e32 v1, vcc_lo, 0, v9, vcc_lo
	s_delay_alu instid0(VALU_DEP_2) | instskip(NEXT) | instid1(VALU_DEP_2)
	v_add_co_u32 v3, vcc_lo, v0, v8
	v_add_co_ci_u32_e32 v6, vcc_lo, 0, v1, vcc_lo
	s_delay_alu instid0(VALU_DEP_2) | instskip(SKIP_1) | instid1(VALU_DEP_3)
	v_mul_lo_u32 v7, s29, v3
	v_mad_u64_u32 v[0:1], null, s28, v3, 0
	v_mul_lo_u32 v8, s28, v6
	s_delay_alu instid0(VALU_DEP_2) | instskip(NEXT) | instid1(VALU_DEP_2)
	v_sub_co_u32 v0, vcc_lo, v11, v0
	v_add3_u32 v1, v1, v8, v7
	s_delay_alu instid0(VALU_DEP_1) | instskip(NEXT) | instid1(VALU_DEP_1)
	v_sub_nc_u32_e32 v7, v13, v1
	v_subrev_co_ci_u32_e64 v7, s0, s29, v7, vcc_lo
	v_add_co_u32 v8, s0, v3, 2
	s_delay_alu instid0(VALU_DEP_1) | instskip(SKIP_3) | instid1(VALU_DEP_3)
	v_add_co_ci_u32_e64 v9, s0, 0, v6, s0
	v_sub_co_u32 v11, s0, v0, s28
	v_sub_co_ci_u32_e32 v1, vcc_lo, v13, v1, vcc_lo
	v_subrev_co_ci_u32_e64 v7, s0, 0, v7, s0
	v_cmp_le_u32_e32 vcc_lo, s28, v11
	s_delay_alu instid0(VALU_DEP_3) | instskip(SKIP_1) | instid1(VALU_DEP_4)
	v_cmp_eq_u32_e64 s0, s29, v1
	v_cndmask_b32_e64 v11, 0, -1, vcc_lo
	v_cmp_le_u32_e32 vcc_lo, s29, v7
	v_cndmask_b32_e64 v12, 0, -1, vcc_lo
	v_cmp_le_u32_e32 vcc_lo, s28, v0
	;; [unrolled: 2-line block ×3, first 2 shown]
	v_cndmask_b32_e64 v13, 0, -1, vcc_lo
	v_cmp_eq_u32_e32 vcc_lo, s29, v7
	s_delay_alu instid0(VALU_DEP_2) | instskip(SKIP_3) | instid1(VALU_DEP_3)
	v_cndmask_b32_e64 v0, v13, v0, s0
	v_cndmask_b32_e32 v7, v12, v11, vcc_lo
	v_add_co_u32 v11, vcc_lo, v3, 1
	v_add_co_ci_u32_e32 v12, vcc_lo, 0, v6, vcc_lo
	v_cmp_ne_u32_e32 vcc_lo, 0, v7
	s_delay_alu instid0(VALU_DEP_2) | instskip(NEXT) | instid1(VALU_DEP_4)
	v_cndmask_b32_e32 v1, v12, v9, vcc_lo
	v_cndmask_b32_e32 v7, v11, v8, vcc_lo
	v_cmp_ne_u32_e32 vcc_lo, 0, v0
	v_xor_b32_e32 v0, s2, v10
	s_delay_alu instid0(VALU_DEP_3) | instskip(SKIP_2) | instid1(VALU_DEP_3)
	v_cndmask_b32_e32 v3, v3, v7, vcc_lo
	v_cndmask_b32_e32 v1, v6, v1, vcc_lo
	v_xor_b32_e32 v7, s3, v10
	v_xor_b32_e32 v3, v3, v0
	s_delay_alu instid0(VALU_DEP_2) | instskip(NEXT) | instid1(VALU_DEP_2)
	v_xor_b32_e32 v1, v1, v7
	v_sub_co_u32 v6, vcc_lo, v3, v0
	s_delay_alu instid0(VALU_DEP_2)
	v_sub_co_ci_u32_e32 v7, vcc_lo, v1, v7, vcc_lo
.LBB7_6:                                ;   in Loop: Header=BB7_4 Depth=1
	s_and_not1_saveexec_b32 s0, s1
	s_cbranch_execz .LBB7_8
; %bb.7:                                ;   in Loop: Header=BB7_4 Depth=1
	s_sub_i32 s1, 0, s5
	v_mov_b32_e32 v7, v2
	v_mul_lo_u32 v0, s1, v18
	s_delay_alu instid0(VALU_DEP_1) | instskip(NEXT) | instid1(VALU_DEP_1)
	v_mul_hi_u32 v0, v18, v0
	v_add_nc_u32_e32 v0, v18, v0
	s_delay_alu instid0(VALU_DEP_1) | instskip(NEXT) | instid1(VALU_DEP_1)
	v_mul_hi_u32 v0, v4, v0
	v_mul_lo_u32 v1, v0, s5
	v_add_nc_u32_e32 v3, 1, v0
	s_delay_alu instid0(VALU_DEP_2) | instskip(NEXT) | instid1(VALU_DEP_1)
	v_sub_nc_u32_e32 v1, v4, v1
	v_subrev_nc_u32_e32 v6, s5, v1
	v_cmp_le_u32_e32 vcc_lo, s5, v1
	s_delay_alu instid0(VALU_DEP_2) | instskip(NEXT) | instid1(VALU_DEP_1)
	v_dual_cndmask_b32 v1, v1, v6 :: v_dual_cndmask_b32 v0, v0, v3
	v_cmp_le_u32_e32 vcc_lo, s5, v1
	s_delay_alu instid0(VALU_DEP_2) | instskip(NEXT) | instid1(VALU_DEP_1)
	v_add_nc_u32_e32 v3, 1, v0
	v_cndmask_b32_e32 v6, v0, v3, vcc_lo
.LBB7_8:                                ;   in Loop: Header=BB7_4 Depth=1
	s_or_b32 exec_lo, exec_lo, s0
	s_delay_alu instid0(VALU_DEP_1) | instskip(SKIP_1) | instid1(VALU_DEP_1)
	v_or_b32_e32 v3, s31, v7
                                        ; implicit-def: $vgpr0_vgpr1
	s_mov_b32 s0, exec_lo
	v_cmpx_ne_u64_e32 0, v[2:3]
	s_xor_b32 s1, exec_lo, s0
	s_cbranch_execz .LBB7_10
; %bb.9:                                ;   in Loop: Header=BB7_4 Depth=1
	s_add_u32 s28, s4, s31
	s_mov_b32 s2, s31
	s_mov_b32 s3, s31
	s_addc_u32 s29, s31, s31
	s_delay_alu instid0(SALU_CYCLE_1) | instskip(NEXT) | instid1(SALU_CYCLE_1)
	s_xor_b64 s[28:29], s[28:29], s[2:3]
	v_cvt_f32_u32_e32 v0, s28
	v_cvt_f32_u32_e32 v1, s29
	s_sub_u32 s0, 0, s28
	s_subb_u32 s48, 0, s29
	s_delay_alu instid0(VALU_DEP_1) | instskip(NEXT) | instid1(VALU_DEP_1)
	v_fmac_f32_e32 v0, 0x4f800000, v1
	v_rcp_f32_e32 v0, v0
	s_waitcnt_depctr 0xfff
	v_mul_f32_e32 v0, 0x5f7ffffc, v0
	s_delay_alu instid0(VALU_DEP_1) | instskip(NEXT) | instid1(VALU_DEP_1)
	v_mul_f32_e32 v1, 0x2f800000, v0
	v_trunc_f32_e32 v1, v1
	s_delay_alu instid0(VALU_DEP_1) | instskip(SKIP_1) | instid1(VALU_DEP_2)
	v_fmac_f32_e32 v0, 0xcf800000, v1
	v_cvt_u32_f32_e32 v1, v1
	v_cvt_u32_f32_e32 v0, v0
	s_delay_alu instid0(VALU_DEP_2) | instskip(NEXT) | instid1(VALU_DEP_2)
	v_mul_lo_u32 v3, s0, v1
	v_mul_hi_u32 v8, s0, v0
	v_mul_lo_u32 v9, s48, v0
	s_delay_alu instid0(VALU_DEP_2) | instskip(SKIP_1) | instid1(VALU_DEP_2)
	v_add_nc_u32_e32 v3, v8, v3
	v_mul_lo_u32 v8, s0, v0
	v_add_nc_u32_e32 v3, v3, v9
	s_delay_alu instid0(VALU_DEP_2) | instskip(NEXT) | instid1(VALU_DEP_2)
	v_mul_hi_u32 v9, v0, v8
	v_mul_lo_u32 v10, v0, v3
	v_mul_hi_u32 v11, v0, v3
	v_mul_hi_u32 v12, v1, v8
	v_mul_lo_u32 v8, v1, v8
	v_mul_hi_u32 v13, v1, v3
	v_mul_lo_u32 v3, v1, v3
	v_add_co_u32 v9, vcc_lo, v9, v10
	v_add_co_ci_u32_e32 v10, vcc_lo, 0, v11, vcc_lo
	s_delay_alu instid0(VALU_DEP_2) | instskip(NEXT) | instid1(VALU_DEP_2)
	v_add_co_u32 v8, vcc_lo, v9, v8
	v_add_co_ci_u32_e32 v8, vcc_lo, v10, v12, vcc_lo
	v_add_co_ci_u32_e32 v9, vcc_lo, 0, v13, vcc_lo
	v_ashrrev_i32_e32 v12, 31, v7
	s_delay_alu instid0(VALU_DEP_3) | instskip(NEXT) | instid1(VALU_DEP_3)
	v_add_co_u32 v3, vcc_lo, v8, v3
	v_add_co_ci_u32_e32 v8, vcc_lo, 0, v9, vcc_lo
	s_delay_alu instid0(VALU_DEP_2) | instskip(NEXT) | instid1(VALU_DEP_2)
	v_add_co_u32 v0, vcc_lo, v0, v3
	v_add_co_ci_u32_e32 v1, vcc_lo, v1, v8, vcc_lo
	s_delay_alu instid0(VALU_DEP_2) | instskip(SKIP_1) | instid1(VALU_DEP_3)
	v_mul_hi_u32 v3, s0, v0
	v_mul_lo_u32 v9, s48, v0
	v_mul_lo_u32 v8, s0, v1
	s_delay_alu instid0(VALU_DEP_1) | instskip(SKIP_1) | instid1(VALU_DEP_2)
	v_add_nc_u32_e32 v3, v3, v8
	v_mul_lo_u32 v8, s0, v0
	v_add_nc_u32_e32 v3, v3, v9
	s_delay_alu instid0(VALU_DEP_2) | instskip(NEXT) | instid1(VALU_DEP_2)
	v_mul_hi_u32 v9, v0, v8
	v_mul_lo_u32 v10, v0, v3
	v_mul_hi_u32 v11, v0, v3
	v_mul_hi_u32 v13, v1, v8
	v_mul_lo_u32 v8, v1, v8
	v_mul_hi_u32 v14, v1, v3
	v_mul_lo_u32 v3, v1, v3
	v_add_co_u32 v9, vcc_lo, v9, v10
	v_add_co_ci_u32_e32 v10, vcc_lo, 0, v11, vcc_lo
	s_delay_alu instid0(VALU_DEP_2) | instskip(NEXT) | instid1(VALU_DEP_2)
	v_add_co_u32 v8, vcc_lo, v9, v8
	v_add_co_ci_u32_e32 v8, vcc_lo, v10, v13, vcc_lo
	v_add_co_ci_u32_e32 v9, vcc_lo, 0, v14, vcc_lo
	v_add_co_u32 v10, vcc_lo, v6, v12
	v_add_co_ci_u32_e32 v11, vcc_lo, v7, v12, vcc_lo
	s_delay_alu instid0(VALU_DEP_4) | instskip(NEXT) | instid1(VALU_DEP_4)
	v_add_co_u32 v3, vcc_lo, v8, v3
	v_add_co_ci_u32_e32 v8, vcc_lo, 0, v9, vcc_lo
	s_delay_alu instid0(VALU_DEP_4) | instskip(NEXT) | instid1(VALU_DEP_3)
	v_xor_b32_e32 v13, v10, v12
	v_add_co_u32 v3, vcc_lo, v0, v3
	s_delay_alu instid0(VALU_DEP_3) | instskip(SKIP_1) | instid1(VALU_DEP_3)
	v_add_co_ci_u32_e32 v14, vcc_lo, v1, v8, vcc_lo
	v_xor_b32_e32 v15, v11, v12
	v_mul_hi_u32 v16, v13, v3
	s_delay_alu instid0(VALU_DEP_3) | instskip(NEXT) | instid1(VALU_DEP_3)
	v_mad_u64_u32 v[0:1], null, v13, v14, 0
	v_mad_u64_u32 v[8:9], null, v15, v3, 0
	;; [unrolled: 1-line block ×3, first 2 shown]
	s_delay_alu instid0(VALU_DEP_3) | instskip(NEXT) | instid1(VALU_DEP_4)
	v_add_co_u32 v0, vcc_lo, v16, v0
	v_add_co_ci_u32_e32 v1, vcc_lo, 0, v1, vcc_lo
	s_delay_alu instid0(VALU_DEP_2) | instskip(NEXT) | instid1(VALU_DEP_2)
	v_add_co_u32 v0, vcc_lo, v0, v8
	v_add_co_ci_u32_e32 v0, vcc_lo, v1, v9, vcc_lo
	v_add_co_ci_u32_e32 v1, vcc_lo, 0, v11, vcc_lo
	s_delay_alu instid0(VALU_DEP_2) | instskip(NEXT) | instid1(VALU_DEP_2)
	v_add_co_u32 v3, vcc_lo, v0, v10
	v_add_co_ci_u32_e32 v8, vcc_lo, 0, v1, vcc_lo
	s_delay_alu instid0(VALU_DEP_2) | instskip(SKIP_1) | instid1(VALU_DEP_3)
	v_mul_lo_u32 v9, s29, v3
	v_mad_u64_u32 v[0:1], null, s28, v3, 0
	v_mul_lo_u32 v10, s28, v8
	s_delay_alu instid0(VALU_DEP_2) | instskip(NEXT) | instid1(VALU_DEP_2)
	v_sub_co_u32 v0, vcc_lo, v13, v0
	v_add3_u32 v1, v1, v10, v9
	s_delay_alu instid0(VALU_DEP_1) | instskip(NEXT) | instid1(VALU_DEP_1)
	v_sub_nc_u32_e32 v9, v15, v1
	v_subrev_co_ci_u32_e64 v9, s0, s29, v9, vcc_lo
	v_add_co_u32 v10, s0, v3, 2
	s_delay_alu instid0(VALU_DEP_1) | instskip(SKIP_3) | instid1(VALU_DEP_3)
	v_add_co_ci_u32_e64 v11, s0, 0, v8, s0
	v_sub_co_u32 v13, s0, v0, s28
	v_sub_co_ci_u32_e32 v1, vcc_lo, v15, v1, vcc_lo
	v_subrev_co_ci_u32_e64 v9, s0, 0, v9, s0
	v_cmp_le_u32_e32 vcc_lo, s28, v13
	s_delay_alu instid0(VALU_DEP_3) | instskip(SKIP_1) | instid1(VALU_DEP_4)
	v_cmp_eq_u32_e64 s0, s29, v1
	v_cndmask_b32_e64 v13, 0, -1, vcc_lo
	v_cmp_le_u32_e32 vcc_lo, s29, v9
	v_cndmask_b32_e64 v14, 0, -1, vcc_lo
	v_cmp_le_u32_e32 vcc_lo, s28, v0
	;; [unrolled: 2-line block ×3, first 2 shown]
	v_cndmask_b32_e64 v15, 0, -1, vcc_lo
	v_cmp_eq_u32_e32 vcc_lo, s29, v9
	s_delay_alu instid0(VALU_DEP_2) | instskip(SKIP_3) | instid1(VALU_DEP_3)
	v_cndmask_b32_e64 v0, v15, v0, s0
	v_cndmask_b32_e32 v9, v14, v13, vcc_lo
	v_add_co_u32 v13, vcc_lo, v3, 1
	v_add_co_ci_u32_e32 v14, vcc_lo, 0, v8, vcc_lo
	v_cmp_ne_u32_e32 vcc_lo, 0, v9
	s_delay_alu instid0(VALU_DEP_2) | instskip(NEXT) | instid1(VALU_DEP_4)
	v_cndmask_b32_e32 v1, v14, v11, vcc_lo
	v_cndmask_b32_e32 v9, v13, v10, vcc_lo
	v_cmp_ne_u32_e32 vcc_lo, 0, v0
	v_xor_b32_e32 v0, s2, v12
	s_delay_alu instid0(VALU_DEP_3) | instskip(SKIP_2) | instid1(VALU_DEP_3)
	v_cndmask_b32_e32 v3, v3, v9, vcc_lo
	v_cndmask_b32_e32 v1, v8, v1, vcc_lo
	v_xor_b32_e32 v8, s3, v12
	v_xor_b32_e32 v3, v3, v0
	s_delay_alu instid0(VALU_DEP_2) | instskip(NEXT) | instid1(VALU_DEP_2)
	v_xor_b32_e32 v1, v1, v8
	v_sub_co_u32 v0, vcc_lo, v3, v0
	s_delay_alu instid0(VALU_DEP_2)
	v_sub_co_ci_u32_e32 v1, vcc_lo, v1, v8, vcc_lo
.LBB7_10:                               ;   in Loop: Header=BB7_4 Depth=1
	s_and_not1_saveexec_b32 s0, s1
	s_cbranch_execz .LBB7_12
; %bb.11:                               ;   in Loop: Header=BB7_4 Depth=1
	v_cvt_f32_u32_e32 v0, s4
	s_sub_i32 s1, 0, s4
	s_delay_alu instid0(VALU_DEP_1) | instskip(SKIP_2) | instid1(VALU_DEP_1)
	v_rcp_iflag_f32_e32 v0, v0
	s_waitcnt_depctr 0xfff
	v_mul_f32_e32 v0, 0x4f7ffffe, v0
	v_cvt_u32_f32_e32 v0, v0
	s_delay_alu instid0(VALU_DEP_1) | instskip(NEXT) | instid1(VALU_DEP_1)
	v_mul_lo_u32 v1, s1, v0
	v_mul_hi_u32 v1, v0, v1
	s_delay_alu instid0(VALU_DEP_1) | instskip(NEXT) | instid1(VALU_DEP_1)
	v_add_nc_u32_e32 v0, v0, v1
	v_mul_hi_u32 v0, v6, v0
	s_delay_alu instid0(VALU_DEP_1) | instskip(SKIP_1) | instid1(VALU_DEP_2)
	v_mul_lo_u32 v1, v0, s4
	v_add_nc_u32_e32 v3, 1, v0
	v_sub_nc_u32_e32 v1, v6, v1
	s_delay_alu instid0(VALU_DEP_1) | instskip(SKIP_1) | instid1(VALU_DEP_2)
	v_subrev_nc_u32_e32 v8, s4, v1
	v_cmp_le_u32_e32 vcc_lo, s4, v1
	v_dual_cndmask_b32 v1, v1, v8 :: v_dual_cndmask_b32 v0, v0, v3
	s_delay_alu instid0(VALU_DEP_1) | instskip(NEXT) | instid1(VALU_DEP_2)
	v_cmp_le_u32_e32 vcc_lo, s4, v1
	v_add_nc_u32_e32 v3, 1, v0
	s_delay_alu instid0(VALU_DEP_1)
	v_dual_mov_b32 v1, v2 :: v_dual_cndmask_b32 v0, v0, v3
.LBB7_12:                               ;   in Loop: Header=BB7_4 Depth=1
	s_or_b32 exec_lo, exec_lo, s0
	s_delay_alu instid0(VALU_DEP_1) | instskip(NEXT) | instid1(VALU_DEP_2)
	v_mul_lo_u32 v3, v1, s4
	v_mul_lo_u32 v10, v0, s31
	v_mad_u64_u32 v[8:9], null, v0, s4, 0
	s_mov_b32 s0, exec_lo
	s_delay_alu instid0(VALU_DEP_1) | instskip(NEXT) | instid1(VALU_DEP_2)
	v_add3_u32 v3, v9, v10, v3
	v_sub_co_u32 v8, vcc_lo, v6, v8
	s_delay_alu instid0(VALU_DEP_2) | instskip(NEXT) | instid1(VALU_DEP_2)
	v_sub_co_ci_u32_e32 v3, vcc_lo, v7, v3, vcc_lo
	v_mul_lo_u32 v9, v8, s33
	v_mad_u64_u32 v[10:11], null, v8, s34, 0
	s_delay_alu instid0(VALU_DEP_3) | instskip(NEXT) | instid1(VALU_DEP_2)
	v_mul_lo_u32 v3, v3, s34
	v_sub_co_u32 v8, vcc_lo, v10, s36
	s_delay_alu instid0(VALU_DEP_2) | instskip(NEXT) | instid1(VALU_DEP_1)
	v_add3_u32 v11, v11, v9, v3
	v_subrev_co_ci_u32_e32 v9, vcc_lo, s35, v11, vcc_lo
	s_delay_alu instid0(VALU_DEP_1) | instskip(SKIP_1) | instid1(VALU_DEP_1)
	v_cmp_lt_i64_e32 vcc_lo, 0, v[8:9]
	v_dual_cndmask_b32 v3, 0, v9 :: v_dual_cndmask_b32 v12, 0, v8
	v_add_co_u32 v12, vcc_lo, v12, s36
	s_delay_alu instid0(VALU_DEP_2) | instskip(NEXT) | instid1(VALU_DEP_1)
	v_add_co_ci_u32_e32 v13, vcc_lo, s35, v3, vcc_lo
	v_cmp_ne_u64_e32 vcc_lo, v[12:13], v[10:11]
	v_cndmask_b32_e64 v14, 0, 1, vcc_lo
	s_delay_alu instid0(VALU_DEP_1) | instskip(SKIP_1) | instid1(VALU_DEP_2)
	v_add_co_u32 v3, vcc_lo, v10, v14
	v_add_co_ci_u32_e32 v10, vcc_lo, 0, v11, vcc_lo
	v_sub_co_u32 v12, vcc_lo, v12, v3
	s_delay_alu instid0(VALU_DEP_2) | instskip(NEXT) | instid1(VALU_DEP_1)
	v_sub_co_ci_u32_e32 v13, vcc_lo, v13, v10, vcc_lo
                                        ; implicit-def: $vgpr10_vgpr11
	v_or_b32_e32 v3, s43, v13
	s_delay_alu instid0(VALU_DEP_1)
	v_cmpx_ne_u64_e32 0, v[2:3]
	s_xor_b32 s1, exec_lo, s0
	s_cbranch_execz .LBB7_14
; %bb.13:                               ;   in Loop: Header=BB7_4 Depth=1
	v_cvt_f32_u32_e32 v3, s44
	v_cvt_f32_u32_e32 v10, s43
	s_sub_u32 s0, 0, s44
	s_subb_u32 s2, 0, s43
	s_delay_alu instid0(VALU_DEP_1) | instskip(NEXT) | instid1(VALU_DEP_1)
	v_fmac_f32_e32 v3, 0x4f800000, v10
	v_rcp_f32_e32 v3, v3
	s_waitcnt_depctr 0xfff
	v_mul_f32_e32 v3, 0x5f7ffffc, v3
	s_delay_alu instid0(VALU_DEP_1) | instskip(NEXT) | instid1(VALU_DEP_1)
	v_mul_f32_e32 v10, 0x2f800000, v3
	v_trunc_f32_e32 v10, v10
	s_delay_alu instid0(VALU_DEP_1) | instskip(SKIP_1) | instid1(VALU_DEP_2)
	v_fmac_f32_e32 v3, 0xcf800000, v10
	v_cvt_u32_f32_e32 v10, v10
	v_cvt_u32_f32_e32 v3, v3
	s_delay_alu instid0(VALU_DEP_2) | instskip(NEXT) | instid1(VALU_DEP_2)
	v_mul_lo_u32 v11, s0, v10
	v_mul_hi_u32 v15, s0, v3
	v_mul_lo_u32 v16, s2, v3
	s_delay_alu instid0(VALU_DEP_2) | instskip(SKIP_1) | instid1(VALU_DEP_2)
	v_add_nc_u32_e32 v11, v15, v11
	v_mul_lo_u32 v15, s0, v3
	v_add_nc_u32_e32 v11, v11, v16
	s_delay_alu instid0(VALU_DEP_2) | instskip(NEXT) | instid1(VALU_DEP_2)
	v_mul_hi_u32 v16, v3, v15
	v_mul_lo_u32 v17, v3, v11
	v_mul_hi_u32 v19, v3, v11
	v_mul_hi_u32 v20, v10, v15
	v_mul_lo_u32 v15, v10, v15
	v_mul_hi_u32 v21, v10, v11
	v_mul_lo_u32 v11, v10, v11
	v_add_co_u32 v16, vcc_lo, v16, v17
	v_add_co_ci_u32_e32 v17, vcc_lo, 0, v19, vcc_lo
	s_delay_alu instid0(VALU_DEP_2) | instskip(NEXT) | instid1(VALU_DEP_2)
	v_add_co_u32 v15, vcc_lo, v16, v15
	v_add_co_ci_u32_e32 v15, vcc_lo, v17, v20, vcc_lo
	v_add_co_ci_u32_e32 v16, vcc_lo, 0, v21, vcc_lo
	s_delay_alu instid0(VALU_DEP_2) | instskip(NEXT) | instid1(VALU_DEP_2)
	v_add_co_u32 v11, vcc_lo, v15, v11
	v_add_co_ci_u32_e32 v15, vcc_lo, 0, v16, vcc_lo
	s_delay_alu instid0(VALU_DEP_2) | instskip(NEXT) | instid1(VALU_DEP_2)
	v_add_co_u32 v3, vcc_lo, v3, v11
	v_add_co_ci_u32_e32 v10, vcc_lo, v10, v15, vcc_lo
	s_delay_alu instid0(VALU_DEP_2) | instskip(SKIP_1) | instid1(VALU_DEP_3)
	v_mul_hi_u32 v11, s0, v3
	v_mul_lo_u32 v16, s2, v3
	v_mul_lo_u32 v15, s0, v10
	s_delay_alu instid0(VALU_DEP_1) | instskip(SKIP_1) | instid1(VALU_DEP_2)
	v_add_nc_u32_e32 v11, v11, v15
	v_mul_lo_u32 v15, s0, v3
	v_add_nc_u32_e32 v11, v11, v16
	s_delay_alu instid0(VALU_DEP_2) | instskip(NEXT) | instid1(VALU_DEP_2)
	v_mul_hi_u32 v16, v3, v15
	v_mul_lo_u32 v17, v3, v11
	v_mul_hi_u32 v19, v3, v11
	v_mul_hi_u32 v20, v10, v15
	v_mul_lo_u32 v15, v10, v15
	v_mul_hi_u32 v21, v10, v11
	v_mul_lo_u32 v11, v10, v11
	v_add_co_u32 v16, vcc_lo, v16, v17
	v_add_co_ci_u32_e32 v17, vcc_lo, 0, v19, vcc_lo
	s_delay_alu instid0(VALU_DEP_2) | instskip(NEXT) | instid1(VALU_DEP_2)
	v_add_co_u32 v15, vcc_lo, v16, v15
	v_add_co_ci_u32_e32 v15, vcc_lo, v17, v20, vcc_lo
	v_add_co_ci_u32_e32 v16, vcc_lo, 0, v21, vcc_lo
	s_delay_alu instid0(VALU_DEP_2) | instskip(NEXT) | instid1(VALU_DEP_2)
	v_add_co_u32 v11, vcc_lo, v15, v11
	v_add_co_ci_u32_e32 v15, vcc_lo, 0, v16, vcc_lo
	s_delay_alu instid0(VALU_DEP_2) | instskip(NEXT) | instid1(VALU_DEP_2)
	v_add_co_u32 v3, vcc_lo, v3, v11
	v_add_co_ci_u32_e32 v17, vcc_lo, v10, v15, vcc_lo
	s_delay_alu instid0(VALU_DEP_2) | instskip(SKIP_1) | instid1(VALU_DEP_3)
	v_mul_hi_u32 v21, v12, v3
	v_mad_u64_u32 v[15:16], null, v13, v3, 0
	v_mad_u64_u32 v[10:11], null, v12, v17, 0
	;; [unrolled: 1-line block ×3, first 2 shown]
	s_delay_alu instid0(VALU_DEP_2) | instskip(NEXT) | instid1(VALU_DEP_3)
	v_add_co_u32 v3, vcc_lo, v21, v10
	v_add_co_ci_u32_e32 v10, vcc_lo, 0, v11, vcc_lo
	s_delay_alu instid0(VALU_DEP_2) | instskip(NEXT) | instid1(VALU_DEP_2)
	v_add_co_u32 v3, vcc_lo, v3, v15
	v_add_co_ci_u32_e32 v3, vcc_lo, v10, v16, vcc_lo
	v_add_co_ci_u32_e32 v10, vcc_lo, 0, v20, vcc_lo
	s_delay_alu instid0(VALU_DEP_2) | instskip(NEXT) | instid1(VALU_DEP_2)
	v_add_co_u32 v3, vcc_lo, v3, v19
	v_add_co_ci_u32_e32 v15, vcc_lo, 0, v10, vcc_lo
	s_delay_alu instid0(VALU_DEP_2) | instskip(SKIP_1) | instid1(VALU_DEP_3)
	v_mul_lo_u32 v16, s43, v3
	v_mad_u64_u32 v[10:11], null, s44, v3, 0
	v_mul_lo_u32 v17, s44, v15
	s_delay_alu instid0(VALU_DEP_2) | instskip(NEXT) | instid1(VALU_DEP_2)
	v_sub_co_u32 v10, vcc_lo, v12, v10
	v_add3_u32 v11, v11, v17, v16
	s_delay_alu instid0(VALU_DEP_1) | instskip(NEXT) | instid1(VALU_DEP_1)
	v_sub_nc_u32_e32 v16, v13, v11
	v_subrev_co_ci_u32_e64 v12, s0, s43, v16, vcc_lo
	v_add_co_u32 v16, s0, v3, 2
	s_delay_alu instid0(VALU_DEP_1) | instskip(SKIP_3) | instid1(VALU_DEP_3)
	v_add_co_ci_u32_e64 v17, s0, 0, v15, s0
	v_sub_co_u32 v19, s0, v10, s44
	v_sub_co_ci_u32_e32 v11, vcc_lo, v13, v11, vcc_lo
	v_subrev_co_ci_u32_e64 v12, s0, 0, v12, s0
	v_cmp_le_u32_e32 vcc_lo, s44, v19
	s_delay_alu instid0(VALU_DEP_3) | instskip(SKIP_1) | instid1(VALU_DEP_4)
	v_cmp_eq_u32_e64 s0, s43, v11
	v_cndmask_b32_e64 v13, 0, -1, vcc_lo
	v_cmp_le_u32_e32 vcc_lo, s43, v12
	v_cndmask_b32_e64 v19, 0, -1, vcc_lo
	v_cmp_le_u32_e32 vcc_lo, s44, v10
	;; [unrolled: 2-line block ×3, first 2 shown]
	v_cndmask_b32_e64 v20, 0, -1, vcc_lo
	v_cmp_eq_u32_e32 vcc_lo, s43, v12
	s_delay_alu instid0(VALU_DEP_2) | instskip(SKIP_3) | instid1(VALU_DEP_3)
	v_cndmask_b32_e64 v10, v20, v10, s0
	v_cndmask_b32_e32 v12, v19, v13, vcc_lo
	v_add_co_u32 v13, vcc_lo, v3, 1
	v_add_co_ci_u32_e32 v19, vcc_lo, 0, v15, vcc_lo
	v_cmp_ne_u32_e32 vcc_lo, 0, v12
	s_delay_alu instid0(VALU_DEP_2) | instskip(SKIP_1) | instid1(VALU_DEP_2)
	v_dual_cndmask_b32 v11, v19, v17 :: v_dual_cndmask_b32 v12, v13, v16
	v_cmp_ne_u32_e32 vcc_lo, 0, v10
	v_cndmask_b32_e32 v11, v15, v11, vcc_lo
	s_delay_alu instid0(VALU_DEP_3)
	v_cndmask_b32_e32 v10, v3, v12, vcc_lo
                                        ; implicit-def: $vgpr12
.LBB7_14:                               ;   in Loop: Header=BB7_4 Depth=1
	s_and_not1_saveexec_b32 s0, s1
	s_cbranch_execz .LBB7_16
; %bb.15:                               ;   in Loop: Header=BB7_4 Depth=1
	v_cvt_f32_u32_e32 v3, s44
	s_sub_i32 s1, 0, s44
	s_delay_alu instid0(VALU_DEP_1) | instskip(SKIP_2) | instid1(VALU_DEP_1)
	v_rcp_iflag_f32_e32 v3, v3
	s_waitcnt_depctr 0xfff
	v_mul_f32_e32 v3, 0x4f7ffffe, v3
	v_cvt_u32_f32_e32 v3, v3
	s_delay_alu instid0(VALU_DEP_1) | instskip(NEXT) | instid1(VALU_DEP_1)
	v_mul_lo_u32 v10, s1, v3
	v_mul_hi_u32 v10, v3, v10
	s_delay_alu instid0(VALU_DEP_1) | instskip(NEXT) | instid1(VALU_DEP_1)
	v_add_nc_u32_e32 v3, v3, v10
	v_mul_hi_u32 v3, v12, v3
	s_delay_alu instid0(VALU_DEP_1) | instskip(SKIP_1) | instid1(VALU_DEP_2)
	v_mul_lo_u32 v10, v3, s44
	v_add_nc_u32_e32 v11, 1, v3
	v_sub_nc_u32_e32 v10, v12, v10
	s_delay_alu instid0(VALU_DEP_1) | instskip(SKIP_1) | instid1(VALU_DEP_2)
	v_subrev_nc_u32_e32 v12, s44, v10
	v_cmp_le_u32_e32 vcc_lo, s44, v10
	v_dual_cndmask_b32 v10, v10, v12 :: v_dual_cndmask_b32 v3, v3, v11
	s_delay_alu instid0(VALU_DEP_1) | instskip(NEXT) | instid1(VALU_DEP_2)
	v_cmp_le_u32_e32 vcc_lo, s44, v10
	v_add_nc_u32_e32 v11, 1, v3
	s_delay_alu instid0(VALU_DEP_1)
	v_dual_cndmask_b32 v10, v3, v11 :: v_dual_mov_b32 v11, v2
.LBB7_16:                               ;   in Loop: Header=BB7_4 Depth=1
	s_or_b32 exec_lo, exec_lo, s0
	v_mul_lo_u32 v3, v7, s5
	v_mul_lo_u32 v7, v6, s30
	v_mad_u64_u32 v[12:13], null, v6, s5, 0
	s_mov_b32 s0, exec_lo
	s_delay_alu instid0(VALU_DEP_1) | instskip(NEXT) | instid1(VALU_DEP_2)
	v_add3_u32 v3, v13, v7, v3
	v_sub_co_u32 v6, vcc_lo, v4, v12
	s_delay_alu instid0(VALU_DEP_2) | instskip(NEXT) | instid1(VALU_DEP_2)
	v_sub_co_ci_u32_e32 v3, vcc_lo, v5, v3, vcc_lo
	v_mul_lo_u32 v7, v6, s37
	v_mad_u64_u32 v[12:13], null, v6, s38, 0
	s_delay_alu instid0(VALU_DEP_3) | instskip(NEXT) | instid1(VALU_DEP_2)
	v_mul_lo_u32 v3, v3, s38
	v_sub_co_u32 v6, vcc_lo, v12, s40
	s_delay_alu instid0(VALU_DEP_2) | instskip(NEXT) | instid1(VALU_DEP_1)
	v_add3_u32 v13, v13, v7, v3
	v_subrev_co_ci_u32_e32 v7, vcc_lo, s39, v13, vcc_lo
	s_delay_alu instid0(VALU_DEP_1) | instskip(SKIP_2) | instid1(VALU_DEP_2)
	v_cmp_lt_i64_e32 vcc_lo, 0, v[6:7]
	v_cndmask_b32_e32 v15, 0, v6, vcc_lo
	v_cndmask_b32_e32 v3, 0, v7, vcc_lo
	v_add_co_u32 v16, vcc_lo, v15, s40
	s_delay_alu instid0(VALU_DEP_2) | instskip(NEXT) | instid1(VALU_DEP_1)
	v_add_co_ci_u32_e32 v17, vcc_lo, s39, v3, vcc_lo
	v_cmp_ne_u64_e32 vcc_lo, v[16:17], v[12:13]
	v_cndmask_b32_e64 v15, 0, 1, vcc_lo
	s_delay_alu instid0(VALU_DEP_1) | instskip(SKIP_1) | instid1(VALU_DEP_2)
	v_add_co_u32 v3, vcc_lo, v12, v15
	v_add_co_ci_u32_e32 v12, vcc_lo, 0, v13, vcc_lo
	v_sub_co_u32 v16, vcc_lo, v16, v3
	s_delay_alu instid0(VALU_DEP_2) | instskip(NEXT) | instid1(VALU_DEP_1)
	v_sub_co_ci_u32_e32 v17, vcc_lo, v17, v12, vcc_lo
                                        ; implicit-def: $vgpr12_vgpr13
	v_or_b32_e32 v3, s45, v17
	s_delay_alu instid0(VALU_DEP_1)
	v_cmpx_ne_u64_e32 0, v[2:3]
	s_xor_b32 s1, exec_lo, s0
	s_cbranch_execz .LBB7_18
; %bb.17:                               ;   in Loop: Header=BB7_4 Depth=1
	v_cvt_f32_u32_e32 v3, s13
	v_cvt_f32_u32_e32 v12, s45
	s_sub_u32 s0, 0, s13
	s_subb_u32 s2, 0, s45
	s_delay_alu instid0(VALU_DEP_1) | instskip(NEXT) | instid1(VALU_DEP_1)
	v_fmac_f32_e32 v3, 0x4f800000, v12
	v_rcp_f32_e32 v3, v3
	s_waitcnt_depctr 0xfff
	v_mul_f32_e32 v3, 0x5f7ffffc, v3
	s_delay_alu instid0(VALU_DEP_1) | instskip(NEXT) | instid1(VALU_DEP_1)
	v_mul_f32_e32 v12, 0x2f800000, v3
	v_trunc_f32_e32 v12, v12
	s_delay_alu instid0(VALU_DEP_1) | instskip(SKIP_1) | instid1(VALU_DEP_2)
	v_fmac_f32_e32 v3, 0xcf800000, v12
	v_cvt_u32_f32_e32 v12, v12
	v_cvt_u32_f32_e32 v3, v3
	s_delay_alu instid0(VALU_DEP_2) | instskip(NEXT) | instid1(VALU_DEP_2)
	v_mul_lo_u32 v13, s0, v12
	v_mul_hi_u32 v19, s0, v3
	v_mul_lo_u32 v20, s2, v3
	s_delay_alu instid0(VALU_DEP_2) | instskip(SKIP_1) | instid1(VALU_DEP_2)
	v_add_nc_u32_e32 v13, v19, v13
	v_mul_lo_u32 v19, s0, v3
	v_add_nc_u32_e32 v13, v13, v20
	s_delay_alu instid0(VALU_DEP_2) | instskip(NEXT) | instid1(VALU_DEP_2)
	v_mul_hi_u32 v20, v3, v19
	v_mul_lo_u32 v21, v3, v13
	v_mul_hi_u32 v22, v3, v13
	v_mul_hi_u32 v23, v12, v19
	v_mul_lo_u32 v19, v12, v19
	v_mul_hi_u32 v24, v12, v13
	v_mul_lo_u32 v13, v12, v13
	v_add_co_u32 v20, vcc_lo, v20, v21
	v_add_co_ci_u32_e32 v21, vcc_lo, 0, v22, vcc_lo
	s_delay_alu instid0(VALU_DEP_2) | instskip(NEXT) | instid1(VALU_DEP_2)
	v_add_co_u32 v19, vcc_lo, v20, v19
	v_add_co_ci_u32_e32 v19, vcc_lo, v21, v23, vcc_lo
	v_add_co_ci_u32_e32 v20, vcc_lo, 0, v24, vcc_lo
	s_delay_alu instid0(VALU_DEP_2) | instskip(NEXT) | instid1(VALU_DEP_2)
	v_add_co_u32 v13, vcc_lo, v19, v13
	v_add_co_ci_u32_e32 v19, vcc_lo, 0, v20, vcc_lo
	s_delay_alu instid0(VALU_DEP_2) | instskip(NEXT) | instid1(VALU_DEP_2)
	v_add_co_u32 v3, vcc_lo, v3, v13
	v_add_co_ci_u32_e32 v12, vcc_lo, v12, v19, vcc_lo
	s_delay_alu instid0(VALU_DEP_2) | instskip(SKIP_1) | instid1(VALU_DEP_3)
	v_mul_hi_u32 v13, s0, v3
	v_mul_lo_u32 v20, s2, v3
	v_mul_lo_u32 v19, s0, v12
	s_delay_alu instid0(VALU_DEP_1) | instskip(SKIP_1) | instid1(VALU_DEP_2)
	v_add_nc_u32_e32 v13, v13, v19
	v_mul_lo_u32 v19, s0, v3
	v_add_nc_u32_e32 v13, v13, v20
	s_delay_alu instid0(VALU_DEP_2) | instskip(NEXT) | instid1(VALU_DEP_2)
	v_mul_hi_u32 v20, v3, v19
	v_mul_lo_u32 v21, v3, v13
	v_mul_hi_u32 v22, v3, v13
	v_mul_hi_u32 v23, v12, v19
	v_mul_lo_u32 v19, v12, v19
	v_mul_hi_u32 v24, v12, v13
	v_mul_lo_u32 v13, v12, v13
	v_add_co_u32 v20, vcc_lo, v20, v21
	v_add_co_ci_u32_e32 v21, vcc_lo, 0, v22, vcc_lo
	s_delay_alu instid0(VALU_DEP_2) | instskip(NEXT) | instid1(VALU_DEP_2)
	v_add_co_u32 v19, vcc_lo, v20, v19
	v_add_co_ci_u32_e32 v19, vcc_lo, v21, v23, vcc_lo
	v_add_co_ci_u32_e32 v20, vcc_lo, 0, v24, vcc_lo
	s_delay_alu instid0(VALU_DEP_2) | instskip(NEXT) | instid1(VALU_DEP_2)
	v_add_co_u32 v13, vcc_lo, v19, v13
	v_add_co_ci_u32_e32 v19, vcc_lo, 0, v20, vcc_lo
	s_delay_alu instid0(VALU_DEP_2) | instskip(NEXT) | instid1(VALU_DEP_2)
	v_add_co_u32 v3, vcc_lo, v3, v13
	v_add_co_ci_u32_e32 v23, vcc_lo, v12, v19, vcc_lo
	s_delay_alu instid0(VALU_DEP_2) | instskip(SKIP_1) | instid1(VALU_DEP_3)
	v_mul_hi_u32 v24, v16, v3
	v_mad_u64_u32 v[19:20], null, v17, v3, 0
	v_mad_u64_u32 v[12:13], null, v16, v23, 0
	;; [unrolled: 1-line block ×3, first 2 shown]
	s_delay_alu instid0(VALU_DEP_2) | instskip(NEXT) | instid1(VALU_DEP_3)
	v_add_co_u32 v3, vcc_lo, v24, v12
	v_add_co_ci_u32_e32 v12, vcc_lo, 0, v13, vcc_lo
	s_delay_alu instid0(VALU_DEP_2) | instskip(NEXT) | instid1(VALU_DEP_2)
	v_add_co_u32 v3, vcc_lo, v3, v19
	v_add_co_ci_u32_e32 v3, vcc_lo, v12, v20, vcc_lo
	v_add_co_ci_u32_e32 v12, vcc_lo, 0, v22, vcc_lo
	s_delay_alu instid0(VALU_DEP_2) | instskip(NEXT) | instid1(VALU_DEP_2)
	v_add_co_u32 v3, vcc_lo, v3, v21
	v_add_co_ci_u32_e32 v19, vcc_lo, 0, v12, vcc_lo
	s_delay_alu instid0(VALU_DEP_2) | instskip(SKIP_1) | instid1(VALU_DEP_3)
	v_mul_lo_u32 v20, s45, v3
	v_mad_u64_u32 v[12:13], null, s13, v3, 0
	v_mul_lo_u32 v21, s13, v19
	s_delay_alu instid0(VALU_DEP_2) | instskip(NEXT) | instid1(VALU_DEP_2)
	v_sub_co_u32 v12, vcc_lo, v16, v12
	v_add3_u32 v13, v13, v21, v20
	s_delay_alu instid0(VALU_DEP_1) | instskip(NEXT) | instid1(VALU_DEP_1)
	v_sub_nc_u32_e32 v20, v17, v13
	v_subrev_co_ci_u32_e64 v16, s0, s45, v20, vcc_lo
	v_add_co_u32 v20, s0, v3, 2
	s_delay_alu instid0(VALU_DEP_1) | instskip(SKIP_3) | instid1(VALU_DEP_3)
	v_add_co_ci_u32_e64 v21, s0, 0, v19, s0
	v_sub_co_u32 v22, s0, v12, s13
	v_sub_co_ci_u32_e32 v13, vcc_lo, v17, v13, vcc_lo
	v_subrev_co_ci_u32_e64 v16, s0, 0, v16, s0
	v_cmp_le_u32_e32 vcc_lo, s13, v22
	s_delay_alu instid0(VALU_DEP_3) | instskip(SKIP_1) | instid1(VALU_DEP_4)
	v_cmp_eq_u32_e64 s0, s45, v13
	v_cndmask_b32_e64 v17, 0, -1, vcc_lo
	v_cmp_le_u32_e32 vcc_lo, s45, v16
	v_cndmask_b32_e64 v22, 0, -1, vcc_lo
	v_cmp_le_u32_e32 vcc_lo, s13, v12
	;; [unrolled: 2-line block ×3, first 2 shown]
	v_cndmask_b32_e64 v23, 0, -1, vcc_lo
	v_cmp_eq_u32_e32 vcc_lo, s45, v16
	s_delay_alu instid0(VALU_DEP_2) | instskip(SKIP_3) | instid1(VALU_DEP_3)
	v_cndmask_b32_e64 v12, v23, v12, s0
	v_cndmask_b32_e32 v16, v22, v17, vcc_lo
	v_add_co_u32 v17, vcc_lo, v3, 1
	v_add_co_ci_u32_e32 v22, vcc_lo, 0, v19, vcc_lo
	v_cmp_ne_u32_e32 vcc_lo, 0, v16
	s_delay_alu instid0(VALU_DEP_2) | instskip(SKIP_1) | instid1(VALU_DEP_2)
	v_dual_cndmask_b32 v13, v22, v21 :: v_dual_cndmask_b32 v16, v17, v20
	v_cmp_ne_u32_e32 vcc_lo, 0, v12
	v_cndmask_b32_e32 v12, v3, v16, vcc_lo
	s_delay_alu instid0(VALU_DEP_3)
	v_cndmask_b32_e32 v13, v19, v13, vcc_lo
                                        ; implicit-def: $vgpr16
.LBB7_18:                               ;   in Loop: Header=BB7_4 Depth=1
	s_and_not1_saveexec_b32 s0, s1
	s_cbranch_execz .LBB7_20
; %bb.19:                               ;   in Loop: Header=BB7_4 Depth=1
	v_cvt_f32_u32_e32 v3, s13
	s_sub_i32 s1, 0, s13
	s_delay_alu instid0(VALU_DEP_1) | instskip(SKIP_2) | instid1(VALU_DEP_1)
	v_rcp_iflag_f32_e32 v3, v3
	s_waitcnt_depctr 0xfff
	v_mul_f32_e32 v3, 0x4f7ffffe, v3
	v_cvt_u32_f32_e32 v3, v3
	s_delay_alu instid0(VALU_DEP_1) | instskip(NEXT) | instid1(VALU_DEP_1)
	v_mul_lo_u32 v12, s1, v3
	v_mul_hi_u32 v12, v3, v12
	s_delay_alu instid0(VALU_DEP_1) | instskip(NEXT) | instid1(VALU_DEP_1)
	v_add_nc_u32_e32 v3, v3, v12
	v_mul_hi_u32 v3, v16, v3
	s_delay_alu instid0(VALU_DEP_1) | instskip(SKIP_1) | instid1(VALU_DEP_2)
	v_mul_lo_u32 v12, v3, s13
	v_add_nc_u32_e32 v13, 1, v3
	v_sub_nc_u32_e32 v12, v16, v12
	s_delay_alu instid0(VALU_DEP_1) | instskip(SKIP_1) | instid1(VALU_DEP_2)
	v_subrev_nc_u32_e32 v16, s13, v12
	v_cmp_le_u32_e32 vcc_lo, s13, v12
	v_dual_cndmask_b32 v12, v12, v16 :: v_dual_cndmask_b32 v3, v3, v13
	s_delay_alu instid0(VALU_DEP_1) | instskip(NEXT) | instid1(VALU_DEP_2)
	v_cmp_le_u32_e32 vcc_lo, s13, v12
	v_add_nc_u32_e32 v13, 1, v3
	s_delay_alu instid0(VALU_DEP_1)
	v_dual_cndmask_b32 v12, v3, v13 :: v_dual_mov_b32 v13, v2
.LBB7_20:                               ;   in Loop: Header=BB7_4 Depth=1
	s_or_b32 exec_lo, exec_lo, s0
	v_add_co_u32 v3, vcc_lo, v10, v14
	v_add_co_ci_u32_e32 v10, vcc_lo, 0, v11, vcc_lo
	s_delay_alu instid0(VALU_DEP_3) | instskip(SKIP_1) | instid1(VALU_DEP_4)
	v_add_co_u32 v15, vcc_lo, v12, v15
	v_add_co_ci_u32_e32 v12, vcc_lo, 0, v13, vcc_lo
	v_mul_lo_u32 v14, v3, s7
	s_delay_alu instid0(VALU_DEP_4)
	v_mul_lo_u32 v16, v10, s6
	v_mad_u64_u32 v[10:11], null, v3, s6, v[8:9]
	v_mul_lo_u32 v3, v15, s9
	v_mul_lo_u32 v9, v12, s8
	v_mad_u64_u32 v[12:13], null, v15, s8, v[6:7]
	s_mov_b32 s3, exec_lo
	s_delay_alu instid0(VALU_DEP_4) | instskip(NEXT) | instid1(VALU_DEP_2)
	v_add3_u32 v7, v16, v11, v14
	v_add3_u32 v13, v9, v13, v3
	v_add_nc_u32_e32 v3, s41, v8
	s_delay_alu instid0(VALU_DEP_3) | instskip(NEXT) | instid1(VALU_DEP_3)
	v_mul_lo_u32 v11, v7, s14
	v_mad_u64_u32 v[7:8], null, v10, s14, v[12:13]
	v_mul_lo_u32 v13, v10, s15
	s_delay_alu instid0(VALU_DEP_4) | instskip(SKIP_1) | instid1(VALU_DEP_3)
	v_min_i32_e32 v9, s12, v3
	v_mov_b32_e32 v3, 0xff800000
	v_add3_u32 v8, v11, v8, v13
	s_delay_alu instid0(VALU_DEP_3)
	v_cmpx_gt_i32_e64 v9, v10
	s_cbranch_execz .LBB7_3
; %bb.21:                               ;   in Loop: Header=BB7_4 Depth=1
	v_add_nc_u32_e32 v3, s42, v6
	v_mad_u64_u32 v[14:15], null, s10, v0, s[18:19]
	v_mul_lo_u32 v1, s10, v1
	v_mul_lo_u32 v11, s11, v0
	s_delay_alu instid0(VALU_DEP_4) | instskip(SKIP_3) | instid1(VALU_DEP_3)
	v_min_i32_e32 v6, s14, v3
	v_ashrrev_i32_e32 v0, 31, v10
	v_mov_b32_e32 v3, 0xff800000
	s_mov_b32 s28, 0
	v_cmp_gt_i32_e32 vcc_lo, v6, v12
	v_add3_u32 v15, v11, v15, v1
	s_branch .LBB7_23
.LBB7_22:                               ;   in Loop: Header=BB7_23 Depth=2
	s_or_b32 exec_lo, exec_lo, s29
	v_add_nc_u32_e32 v10, s24, v10
	s_delay_alu instid0(VALU_DEP_1) | instskip(SKIP_1) | instid1(VALU_DEP_2)
	v_cmp_ge_i32_e64 s0, v10, v9
	v_ashrrev_i32_e32 v0, 31, v10
	s_or_b32 s28, s0, s28
	s_delay_alu instid0(SALU_CYCLE_1)
	s_and_not1_b32 exec_lo, exec_lo, s28
	s_cbranch_execz .LBB7_2
.LBB7_23:                               ;   Parent Loop BB7_4 Depth=1
                                        ; =>  This Loop Header: Depth=2
                                        ;       Child Loop BB7_25 Depth 3
	s_and_saveexec_b32 s29, vcc_lo
	s_cbranch_execz .LBB7_22
; %bb.24:                               ;   in Loop: Header=BB7_23 Depth=2
	v_ashrrev_i32_e32 v13, 31, v12
	v_mul_lo_u32 v11, v10, s15
	v_mul_lo_u32 v16, v0, s14
	s_mov_b32 s48, 0
	s_delay_alu instid0(VALU_DEP_3) | instskip(NEXT) | instid1(VALU_DEP_1)
	v_mad_u64_u32 v[0:1], null, v10, s14, v[12:13]
	v_add3_u32 v1, v16, v1, v11
	v_mov_b32_e32 v11, v12
	s_delay_alu instid0(VALU_DEP_2) | instskip(NEXT) | instid1(VALU_DEP_1)
	v_lshlrev_b64 v[16:17], 2, v[0:1]
	v_add_co_u32 v16, s0, v14, v16
	s_delay_alu instid0(VALU_DEP_1)
	v_add_co_ci_u32_e64 v17, s0, v15, v17, s0
	.p2align	6
.LBB7_25:                               ;   Parent Loop BB7_4 Depth=1
                                        ;     Parent Loop BB7_23 Depth=2
                                        ; =>    This Inner Loop Header: Depth=3
	global_load_b32 v13, v[16:17], off
	v_add_nc_u32_e32 v11, s25, v11
	v_add_co_u32 v16, s0, v16, s26
	s_delay_alu instid0(VALU_DEP_1) | instskip(NEXT) | instid1(VALU_DEP_3)
	v_add_co_ci_u32_e64 v17, s0, s27, v17, s0
	v_cmp_ge_i32_e64 s0, v11, v6
	s_waitcnt vmcnt(0)
	v_cmp_gt_f32_e64 s1, v13, v3
	v_cmp_u_f32_e64 s2, v13, v13
	s_delay_alu instid0(VALU_DEP_1)
	s_or_b32 s1, s1, s2
	s_or_b32 s48, s0, s48
	v_cndmask_b32_e64 v3, v3, v13, s1
	v_cndmask_b32_e64 v8, v8, v1, s1
	;; [unrolled: 1-line block ×3, first 2 shown]
	v_add_co_u32 v0, s1, v0, s8
	s_delay_alu instid0(VALU_DEP_1)
	v_add_co_ci_u32_e64 v1, s1, s9, v1, s1
	s_and_not1_b32 exec_lo, exec_lo, s48
	s_cbranch_execnz .LBB7_25
; %bb.26:                               ;   in Loop: Header=BB7_23 Depth=2
	s_or_b32 exec_lo, exec_lo, s48
	s_branch .LBB7_22
.LBB7_27:
	s_nop 0
	s_sendmsg sendmsg(MSG_DEALLOC_VGPRS)
	s_endpgm
	.section	.rodata,"a",@progbits
	.p2align	6, 0x0
	.amdhsa_kernel _ZN2at6native12_GLOBAL__N_121max_pool_forward_nchwIflEEvT0_PKT_llliiiiiiiiiiPS4_Pl
		.amdhsa_group_segment_fixed_size 0
		.amdhsa_private_segment_fixed_size 0
		.amdhsa_kernarg_size 352
		.amdhsa_user_sgpr_count 15
		.amdhsa_user_sgpr_dispatch_ptr 0
		.amdhsa_user_sgpr_queue_ptr 0
		.amdhsa_user_sgpr_kernarg_segment_ptr 1
		.amdhsa_user_sgpr_dispatch_id 0
		.amdhsa_user_sgpr_private_segment_size 0
		.amdhsa_wavefront_size32 1
		.amdhsa_uses_dynamic_stack 0
		.amdhsa_enable_private_segment 0
		.amdhsa_system_sgpr_workgroup_id_x 1
		.amdhsa_system_sgpr_workgroup_id_y 0
		.amdhsa_system_sgpr_workgroup_id_z 0
		.amdhsa_system_sgpr_workgroup_info 0
		.amdhsa_system_vgpr_workitem_id 0
		.amdhsa_next_free_vgpr 25
		.amdhsa_next_free_sgpr 49
		.amdhsa_reserve_vcc 1
		.amdhsa_float_round_mode_32 0
		.amdhsa_float_round_mode_16_64 0
		.amdhsa_float_denorm_mode_32 3
		.amdhsa_float_denorm_mode_16_64 3
		.amdhsa_dx10_clamp 1
		.amdhsa_ieee_mode 1
		.amdhsa_fp16_overflow 0
		.amdhsa_workgroup_processor_mode 1
		.amdhsa_memory_ordered 1
		.amdhsa_forward_progress 0
		.amdhsa_shared_vgpr_count 0
		.amdhsa_exception_fp_ieee_invalid_op 0
		.amdhsa_exception_fp_denorm_src 0
		.amdhsa_exception_fp_ieee_div_zero 0
		.amdhsa_exception_fp_ieee_overflow 0
		.amdhsa_exception_fp_ieee_underflow 0
		.amdhsa_exception_fp_ieee_inexact 0
		.amdhsa_exception_int_div_zero 0
	.end_amdhsa_kernel
	.section	.text._ZN2at6native12_GLOBAL__N_121max_pool_forward_nchwIflEEvT0_PKT_llliiiiiiiiiiPS4_Pl,"axG",@progbits,_ZN2at6native12_GLOBAL__N_121max_pool_forward_nchwIflEEvT0_PKT_llliiiiiiiiiiPS4_Pl,comdat
.Lfunc_end7:
	.size	_ZN2at6native12_GLOBAL__N_121max_pool_forward_nchwIflEEvT0_PKT_llliiiiiiiiiiPS4_Pl, .Lfunc_end7-_ZN2at6native12_GLOBAL__N_121max_pool_forward_nchwIflEEvT0_PKT_llliiiiiiiiiiPS4_Pl
                                        ; -- End function
	.section	.AMDGPU.csdata,"",@progbits
; Kernel info:
; codeLenInByte = 5084
; NumSgprs: 51
; NumVgprs: 25
; ScratchSize: 0
; MemoryBound: 0
; FloatMode: 240
; IeeeMode: 1
; LDSByteSize: 0 bytes/workgroup (compile time only)
; SGPRBlocks: 6
; VGPRBlocks: 3
; NumSGPRsForWavesPerEU: 51
; NumVGPRsForWavesPerEU: 25
; Occupancy: 16
; WaveLimiterHint : 0
; COMPUTE_PGM_RSRC2:SCRATCH_EN: 0
; COMPUTE_PGM_RSRC2:USER_SGPR: 15
; COMPUTE_PGM_RSRC2:TRAP_HANDLER: 0
; COMPUTE_PGM_RSRC2:TGID_X_EN: 1
; COMPUTE_PGM_RSRC2:TGID_Y_EN: 0
; COMPUTE_PGM_RSRC2:TGID_Z_EN: 0
; COMPUTE_PGM_RSRC2:TIDIG_COMP_CNT: 0
	.section	.text._ZN2at6native12_GLOBAL__N_121max_pool_forward_nhwcIN3c104HalfEiEEvPKT_iT0_S8_S8_S8_S8_iiiiiiiiS8_S8_S8_S8_iiPS5_Pl,"axG",@progbits,_ZN2at6native12_GLOBAL__N_121max_pool_forward_nhwcIN3c104HalfEiEEvPKT_iT0_S8_S8_S8_S8_iiiiiiiiS8_S8_S8_S8_iiPS5_Pl,comdat
	.globl	_ZN2at6native12_GLOBAL__N_121max_pool_forward_nhwcIN3c104HalfEiEEvPKT_iT0_S8_S8_S8_S8_iiiiiiiiS8_S8_S8_S8_iiPS5_Pl ; -- Begin function _ZN2at6native12_GLOBAL__N_121max_pool_forward_nhwcIN3c104HalfEiEEvPKT_iT0_S8_S8_S8_S8_iiiiiiiiS8_S8_S8_S8_iiPS5_Pl
	.p2align	8
	.type	_ZN2at6native12_GLOBAL__N_121max_pool_forward_nhwcIN3c104HalfEiEEvPKT_iT0_S8_S8_S8_S8_iiiiiiiiS8_S8_S8_S8_iiPS5_Pl,@function
_ZN2at6native12_GLOBAL__N_121max_pool_forward_nhwcIN3c104HalfEiEEvPKT_iT0_S8_S8_S8_S8_iiiiiiiiS8_S8_S8_S8_iiPS5_Pl: ; @_ZN2at6native12_GLOBAL__N_121max_pool_forward_nhwcIN3c104HalfEiEEvPKT_iT0_S8_S8_S8_S8_iiiiiiiiS8_S8_S8_S8_iiPS5_Pl
; %bb.0:
	s_clause 0x1
	s_load_b128 s[4:7], s[0:1], 0x6c
	s_load_b128 s[8:11], s[0:1], 0x48
	v_bfe_u32 v5, v0, 10, 10
	v_bfe_u32 v2, v0, 20, 10
	v_and_b32_e32 v6, 0x3ff, v0
	s_mov_b32 s3, exec_lo
	s_waitcnt lgkmcnt(0)
	s_lshr_b32 s33, s6, 16
	s_and_b32 s6, s6, 0xffff
	v_mad_u32_u24 v7, v2, s33, v5
	s_mul_i32 s35, s6, s11
	s_and_b32 s7, s7, 0xffff
	s_mul_i32 s2, s35, s33
	s_delay_alu instid0(SALU_CYCLE_1) | instskip(SKIP_1) | instid1(VALU_DEP_1)
	s_mul_i32 s2, s2, s7
	v_mad_u64_u32 v[0:1], null, v7, s6, v[6:7]
	v_cmpx_gt_u32_e64 s2, v0
	s_cbranch_execz .LBB8_3
; %bb.1:
	v_dual_mov_b32 v4, 0xfffffc00 :: v_dual_lshlrev_b32 v3, 1, v0
	s_lshl_b32 s16, s2, 2
	s_mul_i32 s12, s33, s6
	v_lshl_add_u32 v1, v0, 2, 0
	s_delay_alu instid0(VALU_DEP_2)
	v_add3_u32 v3, 0, s16, v3
	v_mov_b32_e32 v8, 0
	s_mul_i32 s12, s12, s7
	s_mov_b32 s16, 0
	s_lshl_b32 s17, s12, 1
	s_lshl_b32 s18, s12, 2
.LBB8_2:                                ; =>This Inner Loop Header: Depth=1
	v_add_nc_u32_e32 v0, s12, v0
	ds_store_b16 v3, v4
	ds_store_b32 v1, v8
	v_add_nc_u32_e32 v3, s17, v3
	v_add_nc_u32_e32 v1, s18, v1
	v_cmp_le_u32_e32 vcc_lo, s2, v0
	s_or_b32 s16, vcc_lo, s16
	s_delay_alu instid0(SALU_CYCLE_1)
	s_and_not1_b32 exec_lo, exec_lo, s16
	s_cbranch_execnz .LBB8_2
.LBB8_3:
	s_or_b32 exec_lo, exec_lo, s3
	v_cvt_f32_u32_e32 v0, s5
	s_load_b512 s[16:31], s[0:1], 0x8
	s_sub_i32 s12, 0, s5
	s_waitcnt lgkmcnt(0)
	s_barrier
	v_rcp_iflag_f32_e32 v0, v0
	buffer_gl0_inv
	v_mul_f32_e32 v0, 0x4f7ffffe, v0
	s_delay_alu instid0(VALU_DEP_1) | instskip(SKIP_1) | instid1(SALU_CYCLE_1)
	v_cvt_u32_f32_e32 v0, v0
	s_add_i32 s34, s20, s5
	s_add_i32 s34, s34, -1
	s_delay_alu instid0(VALU_DEP_1) | instskip(SKIP_1) | instid1(VALU_DEP_2)
	v_readfirstlane_b32 s3, v0
	v_cvt_f32_u32_e32 v0, s16
	s_mul_i32 s12, s12, s3
	s_delay_alu instid0(VALU_DEP_1) | instskip(SKIP_3) | instid1(SALU_CYCLE_1)
	v_rcp_iflag_f32_e32 v3, v0
	s_mul_hi_u32 s12, s3, s12
	v_cvt_f32_u32_e32 v0, s4
	s_add_i32 s3, s3, s12
	s_mul_hi_u32 s3, s34, s3
	s_delay_alu instid0(VALU_DEP_1) | instskip(SKIP_1) | instid1(SALU_CYCLE_1)
	v_rcp_iflag_f32_e32 v4, v0
	s_mul_i32 s12, s3, s5
	s_sub_i32 s12, s34, s12
	s_add_i32 s34, s3, 1
	s_sub_i32 s36, s12, s5
	s_cmp_ge_u32 s12, s5
	s_cselect_b32 s3, s34, s3
	s_cselect_b32 s12, s36, s12
	s_add_i32 s34, s3, 1
	s_cmp_ge_u32 s12, s5
	s_mov_b32 s12, exec_lo
	s_cselect_b32 s3, s34, s3
	s_mov_b32 s34, 0
	s_waitcnt_depctr 0xfff
	v_mad_u64_u32 v[0:1], null, s3, s15, v[2:3]
	v_dual_mul_f32 v1, 0x4f7ffffe, v3 :: v_dual_mul_f32 v2, 0x4f7ffffe, v4
	s_delay_alu instid0(VALU_DEP_1) | instskip(NEXT) | instid1(VALU_DEP_3)
	v_cvt_u32_f32_e32 v1, v1
	v_add_nc_u32_e32 v3, s3, v0
	s_delay_alu instid0(VALU_DEP_3) | instskip(NEXT) | instid1(VALU_DEP_3)
	v_cvt_u32_f32_e32 v2, v2
	v_readfirstlane_b32 s5, v1
	s_delay_alu instid0(VALU_DEP_3) | instskip(NEXT) | instid1(VALU_DEP_3)
	v_min_i32_e32 v14, s20, v3
	v_readfirstlane_b32 s3, v2
	s_delay_alu instid0(VALU_DEP_2)
	v_cmpx_lt_i32_e64 v0, v14
	s_cbranch_execz .LBB8_74
; %bb.4:
	s_sub_i32 s12, 0, s16
	s_sub_i32 s36, 0, s4
	s_mul_i32 s12, s12, s5
	s_mul_i32 s36, s36, s3
	s_mul_hi_u32 s12, s5, s12
	s_lshl_b32 s2, s2, 2
	s_add_i32 s5, s5, s12
	s_mul_hi_u32 s12, s3, s36
	s_mul_hi_u32 s5, s13, s5
	s_add_i32 s3, s3, s12
	s_mul_i32 s12, s5, s16
	s_add_i32 s15, s21, s4
	s_add_i32 s42, s2, 0
	s_sub_i32 s2, s13, s12
	s_add_i32 s15, s15, -1
	s_add_i32 s12, s5, 1
	s_sub_i32 s36, s2, s16
	s_load_b64 s[40:41], s[0:1], 0x0
	s_cmp_ge_u32 s2, s16
	s_mul_hi_u32 s43, s15, s3
	s_cselect_b32 s5, s12, s5
	s_cselect_b32 s2, s36, s2
	s_load_b128 s[36:39], s[0:1], 0x58
	s_add_i32 s12, s5, 1
	s_cmp_ge_u32 s2, s16
	s_mul_i32 s3, s20, s17
	s_cselect_b32 s5, s12, s5
	s_mul_i32 s3, s3, s21
	s_mul_i32 s2, s5, s16
	;; [unrolled: 1-line block ×3, first 2 shown]
	s_sub_i32 s2, s13, s2
	v_mul_lo_u32 v11, s11, v7
	s_mul_i32 s12, s2, s30
	s_mul_i32 s2, s3, s2
	s_ashr_i32 s13, s12, 31
	s_ashr_i32 s3, s2, 31
	s_lshl_b64 s[12:13], s[12:13], 1
	v_dual_mov_b32 v28, 0xfffffc00 :: v_dual_lshlrev_b32 v9, 1, v6
	s_waitcnt lgkmcnt(0)
	s_add_u32 s16, s40, s12
	s_addc_u32 s20, s41, s13
	s_sub_i32 s0, s15, s0
	s_add_i32 s1, s43, 1
	s_sub_i32 s12, s0, s4
	s_cmp_ge_u32 s0, s4
	v_mov_b32_e32 v21, 0
	s_cselect_b32 s1, s1, s43
	s_cselect_b32 s0, s12, s0
	s_add_i32 s12, s1, 1
	s_cmp_ge_u32 s0, s4
	s_cselect_b32 s0, s12, s1
	s_add_i32 s1, s22, -1
	s_max_i32 s4, s22, s23
	s_mul_i32 s30, s1, s28
	s_add_i32 s1, s23, -1
	s_add_i32 s30, s30, 1
	s_mul_i32 s1, s1, s29
	s_mul_i32 s12, s6, s10
	s_add_i32 s22, s1, 1
	s_cmp_lt_i32 s4, 4
	v_mad_u64_u32 v[3:4], null, s0, s14, v[5:6]
	s_cselect_b32 s1, -1, 0
	s_cmp_ge_u32 s12, s17
	s_cselect_b32 s4, -1, 0
	s_max_u32 s23, s28, 1
	s_lshl_b32 s40, s29, 1
	v_cvt_f32_u32_e32 v1, s23
	s_lshl_b32 s41, s6, 1
	s_delay_alu instid0(VALU_DEP_1)
	v_rcp_iflag_f32_e32 v8, v1
	v_mad_u64_u32 v[1:2], null, s5, s6, v[6:7]
	v_lshlrev_b32_e32 v10, 1, v7
	s_mul_i32 s5, s33, s7
	v_mul_lo_u32 v2, s35, v7
	v_lshlrev_b32_e32 v6, 2, v6
	s_and_b32 s35, s1, s4
	s_delay_alu instid0(VALU_DEP_4)
	v_mul_lo_u32 v4, v1, s31
	s_waitcnt_depctr 0xfff
	v_mul_f32_e32 v5, 0x4f7ffffe, v8
	v_lshl_add_u32 v7, s5, 2, v10
	v_add_nc_u32_e32 v8, s0, v3
	s_sub_i32 s0, 0, s23
	v_lshlrev_b32_e32 v12, 1, v2
	v_cvt_u32_f32_e32 v10, v5
	v_mul_lo_u32 v19, s11, v7
	v_ashrrev_i32_e32 v5, 31, v4
	v_min_i32_e32 v15, s21, v8
	v_lshlrev_b32_e32 v2, 2, v2
	v_mul_lo_u32 v13, s0, v10
	s_lshl_b64 s[4:5], s[2:3], 1
	v_lshlrev_b64 v[7:8], 1, v[4:5]
	v_add3_u32 v18, s42, v12, v9
	s_lshl_b32 s42, s6, 2
	s_add_u32 s4, s36, s4
	s_addc_u32 s5, s37, s5
	s_ashr_i32 s13, s12, 31
	v_mul_hi_u32 v5, v10, v13
	v_add_co_u32 v16, vcc_lo, s16, v7
	v_mul_lo_u32 v7, v11, s6
	v_add_co_ci_u32_e32 v17, vcc_lo, s20, v8, vcc_lo
	v_mul_lo_u32 v8, v19, s6
	v_add3_u32 v19, 0, v2, v6
	v_add_nc_u32_e32 v20, v10, v5
	v_ashrrev_i32_e32 v2, 31, v1
	s_lshl_b64 s[2:3], s[2:3], 3
	v_lshlrev_b32_e32 v5, 2, v7
	s_mul_i32 s31, s10, s31
	s_lshl_b64 s[10:11], s[12:13], 1
	v_add3_u32 v22, v8, v9, 0
	v_mad_u64_u32 v[7:8], null, s21, v0, v[3:4]
	v_add3_u32 v23, v5, v6, 0
	v_lshlrev_b64 v[5:6], 1, v[1:2]
	s_add_u32 s2, s38, s2
	s_addc_u32 s3, s39, s3
	v_cmp_gt_i32_e64 s0, s17, v1
	v_cmp_lt_i32_e64 s1, v3, v15
	v_mul_lo_u32 v26, s17, v7
	v_add_co_u32 v24, vcc_lo, s4, v5
	v_add_co_ci_u32_e32 v25, vcc_lo, s5, v6, vcc_lo
	v_lshlrev_b64 v[5:6], 3, v[1:2]
	s_mul_i32 s21, s21, s17
	s_mul_i32 s31, s31, s6
	;; [unrolled: 1-line block ×4, first 2 shown]
	s_lshl_b64 s[14:15], s[12:13], 3
	v_add_co_u32 v2, vcc_lo, s2, v5
	v_add_co_ci_u32_e32 v27, vcc_lo, s3, v6, vcc_lo
	s_branch .LBB8_6
.LBB8_5:                                ;   in Loop: Header=BB8_6 Depth=1
	s_or_b32 exec_lo, exec_lo, s13
	v_add_nc_u32_e32 v0, s7, v0
	v_add_nc_u32_e32 v26, s21, v26
	s_delay_alu instid0(VALU_DEP_2) | instskip(SKIP_1) | instid1(SALU_CYCLE_1)
	v_cmp_ge_i32_e32 vcc_lo, v0, v14
	s_or_b32 s34, vcc_lo, s34
	s_and_not1_b32 exec_lo, exec_lo, s34
	s_cbranch_execz .LBB8_74
.LBB8_6:                                ; =>This Loop Header: Depth=1
                                        ;     Child Loop BB8_9 Depth 2
                                        ;       Child Loop BB8_10 Depth 3
                                        ;       Child Loop BB8_63 Depth 3
                                        ;         Child Loop BB8_66 Depth 4
                                        ;           Child Loop BB8_69 Depth 5
                                        ;       Child Loop BB8_73 Depth 3
	s_and_saveexec_b32 s13, s1
	s_cbranch_execz .LBB8_5
; %bb.7:                                ;   in Loop: Header=BB8_6 Depth=1
	v_mul_lo_u32 v5, v0, s24
	v_mov_b32_e32 v30, v3
	s_mov_b32 s37, 0
	v_mov_b32_e32 v7, v26
	s_delay_alu instid0(VALU_DEP_3) | instskip(NEXT) | instid1(VALU_DEP_1)
	v_subrev_nc_u32_e32 v5, s26, v5
	v_add_nc_u32_e32 v6, s30, v5
	s_delay_alu instid0(VALU_DEP_1)
	v_min_i32_e32 v29, s18, v6
	s_branch .LBB8_9
.LBB8_8:                                ;   in Loop: Header=BB8_9 Depth=2
	s_or_b32 exec_lo, exec_lo, s3
	v_add_nc_u32_e32 v30, s33, v30
	v_add_nc_u32_e32 v7, s36, v7
	s_delay_alu instid0(VALU_DEP_2) | instskip(SKIP_1) | instid1(SALU_CYCLE_1)
	v_cmp_ge_i32_e32 vcc_lo, v30, v15
	s_or_b32 s37, vcc_lo, s37
	s_and_not1_b32 exec_lo, exec_lo, s37
	s_cbranch_execz .LBB8_5
.LBB8_9:                                ;   Parent Loop BB8_6 Depth=1
                                        ; =>  This Loop Header: Depth=2
                                        ;       Child Loop BB8_10 Depth 3
                                        ;       Child Loop BB8_63 Depth 3
                                        ;         Child Loop BB8_66 Depth 4
                                        ;           Child Loop BB8_69 Depth 5
                                        ;       Child Loop BB8_73 Depth 3
	v_mul_lo_u32 v6, v30, s25
	s_mov_b32 s2, 0
	s_waitcnt vmcnt(0)
	s_delay_alu instid0(VALU_DEP_1) | instskip(NEXT) | instid1(VALU_DEP_1)
	v_subrev_nc_u32_e32 v8, s27, v6
	v_mov_b32_e32 v32, v8
.LBB8_10:                               ;   Parent Loop BB8_6 Depth=1
                                        ;     Parent Loop BB8_9 Depth=2
                                        ; =>    This Inner Loop Header: Depth=3
	s_delay_alu instid0(VALU_DEP_1) | instskip(NEXT) | instid1(VALU_DEP_1)
	v_mov_b32_e32 v31, v32
	v_cmp_lt_i32_e32 vcc_lo, -1, v31
	v_add_nc_u32_e32 v32, s29, v31
	s_or_b32 s2, vcc_lo, s2
	s_delay_alu instid0(SALU_CYCLE_1)
	s_and_not1_b32 exec_lo, exec_lo, s2
	s_cbranch_execnz .LBB8_10
; %bb.11:                               ;   in Loop: Header=BB8_9 Depth=2
	s_or_b32 exec_lo, exec_lo, s2
	v_lshrrev_b32_e32 v6, 31, v5
	v_max_i32_e32 v9, 0, v5
	s_mov_b32 s3, -1
	s_delay_alu instid0(VALU_DEP_2) | instskip(NEXT) | instid1(VALU_DEP_1)
	v_add_nc_u32_e32 v10, v5, v6
	v_sub_nc_u32_e32 v9, v9, v10
	s_delay_alu instid0(VALU_DEP_1) | instskip(NEXT) | instid1(VALU_DEP_1)
	v_mul_hi_u32 v10, v9, v20
	v_mul_lo_u32 v11, v10, s23
	s_delay_alu instid0(VALU_DEP_1) | instskip(SKIP_1) | instid1(VALU_DEP_2)
	v_sub_nc_u32_e32 v9, v9, v11
	v_add_nc_u32_e32 v11, 1, v10
	v_subrev_nc_u32_e32 v12, s23, v9
	v_cmp_le_u32_e32 vcc_lo, s23, v9
	s_delay_alu instid0(VALU_DEP_2) | instskip(NEXT) | instid1(VALU_DEP_1)
	v_dual_cndmask_b32 v10, v10, v11 :: v_dual_cndmask_b32 v9, v9, v12
	v_add_nc_u32_e32 v11, 1, v10
	s_delay_alu instid0(VALU_DEP_2) | instskip(NEXT) | instid1(VALU_DEP_2)
	v_cmp_le_u32_e32 vcc_lo, s23, v9
	v_dual_mov_b32 v9, v5 :: v_dual_cndmask_b32 v10, v10, v11
	s_and_b32 vcc_lo, exec_lo, s35
	s_delay_alu instid0(VALU_DEP_1) | instskip(NEXT) | instid1(VALU_DEP_1)
	v_add_nc_u32_e32 v10, v6, v10
	v_mad_u64_u32 v[5:6], null, v10, s28, v[9:10]
	v_add_nc_u32_e32 v6, s22, v8
	s_delay_alu instid0(VALU_DEP_1) | instskip(NEXT) | instid1(VALU_DEP_3)
	v_min_i32_e32 v6, s19, v6
	v_cmp_lt_i32_e64 s2, v5, v29
	s_cbranch_vccnz .LBB8_14
; %bb.12:                               ;   in Loop: Header=BB8_9 Depth=2
	s_and_b32 vcc_lo, exec_lo, s3
	s_cbranch_vccnz .LBB8_60
.LBB8_13:                               ;   in Loop: Header=BB8_9 Depth=2
	s_and_saveexec_b32 s3, s0
	s_cbranch_execz .LBB8_8
	s_branch .LBB8_72
.LBB8_14:                               ;   in Loop: Header=BB8_9 Depth=2
	v_mul_lo_u32 v9, v5, s8
	v_mul_lo_u32 v8, v31, s9
	v_cmp_lt_i32_e32 vcc_lo, v31, v6
	v_mov_b32_e32 v34, 0
	v_mov_b32_e32 v36, 0
	v_ashrrev_i32_e32 v10, 31, v9
	s_delay_alu instid0(VALU_DEP_1) | instskip(SKIP_1) | instid1(VALU_DEP_2)
	v_lshlrev_b64 v[10:11], 1, v[9:10]
	v_ashrrev_i32_e32 v9, 31, v8
	v_add_co_u32 v37, s3, v16, v10
	s_delay_alu instid0(VALU_DEP_1) | instskip(SKIP_1) | instid1(SALU_CYCLE_1)
	v_add_co_ci_u32_e64 v39, s3, v17, v11, s3
	s_and_b32 s3, s2, vcc_lo
	s_and_b32 s38, s0, s3
	s_delay_alu instid0(SALU_CYCLE_1)
	s_and_saveexec_b32 s4, s38
	s_cbranch_execz .LBB8_16
; %bb.15:                               ;   in Loop: Header=BB8_9 Depth=2
	v_lshlrev_b64 v[10:11], 1, v[8:9]
	s_delay_alu instid0(VALU_DEP_1) | instskip(NEXT) | instid1(VALU_DEP_1)
	v_add_co_u32 v10, s3, v37, v10
	v_add_co_ci_u32_e64 v11, s3, v39, v11, s3
	global_load_u16 v36, v[10:11], off
.LBB8_16:                               ;   in Loop: Header=BB8_9 Depth=2
	s_or_b32 exec_lo, exec_lo, s4
	v_mul_lo_u32 v10, v32, s9
	v_cmp_lt_i32_e64 s3, v32, v6
	s_delay_alu instid0(VALU_DEP_1) | instskip(NEXT) | instid1(SALU_CYCLE_1)
	s_and_b32 s4, s2, s3
	s_and_b32 s39, s0, s4
	s_delay_alu instid0(VALU_DEP_2)
	v_ashrrev_i32_e32 v11, 31, v10
	s_and_saveexec_b32 s5, s39
	s_cbranch_execz .LBB8_18
; %bb.17:                               ;   in Loop: Header=BB8_9 Depth=2
	s_delay_alu instid0(VALU_DEP_1) | instskip(NEXT) | instid1(VALU_DEP_1)
	v_lshlrev_b64 v[12:13], 1, v[10:11]
	v_add_co_u32 v12, s4, v37, v12
	s_delay_alu instid0(VALU_DEP_1)
	v_add_co_ci_u32_e64 v13, s4, v39, v13, s4
	global_load_u16 v34, v[12:13], off
.LBB8_18:                               ;   in Loop: Header=BB8_9 Depth=2
	s_or_b32 exec_lo, exec_lo, s5
	v_dual_mov_b32 v38, 0 :: v_dual_add_nc_u32 v33, s40, v31
	v_mov_b32_e32 v35, 0
	s_delay_alu instid0(VALU_DEP_2) | instskip(SKIP_1) | instid1(VALU_DEP_1)
	v_mul_lo_u32 v12, v33, s9
	v_cmp_lt_i32_e64 s4, v33, v6
	s_and_b32 s5, s2, s4
	s_delay_alu instid0(SALU_CYCLE_1) | instskip(NEXT) | instid1(VALU_DEP_2)
	s_and_b32 s43, s0, s5
	v_ashrrev_i32_e32 v13, 31, v12
	s_and_saveexec_b32 s6, s43
	s_cbranch_execz .LBB8_20
; %bb.19:                               ;   in Loop: Header=BB8_9 Depth=2
	s_delay_alu instid0(VALU_DEP_1) | instskip(NEXT) | instid1(VALU_DEP_1)
	v_lshlrev_b64 v[40:41], 1, v[12:13]
	v_add_co_u32 v37, s5, v37, v40
	s_delay_alu instid0(VALU_DEP_1)
	v_add_co_ci_u32_e64 v38, s5, v39, v41, s5
	global_load_u16 v38, v[37:38], off
.LBB8_20:                               ;   in Loop: Header=BB8_9 Depth=2
	s_or_b32 exec_lo, exec_lo, s6
	v_add_nc_u32_e32 v40, s28, v5
	s_delay_alu instid0(VALU_DEP_1) | instskip(SKIP_1) | instid1(VALU_DEP_2)
	v_mul_lo_u32 v41, v40, s8
	v_cmp_lt_i32_e64 s5, v40, v29
	v_ashrrev_i32_e32 v42, 31, v41
	s_delay_alu instid0(VALU_DEP_1) | instskip(NEXT) | instid1(VALU_DEP_1)
	v_lshlrev_b64 v[41:42], 1, v[41:42]
	v_add_co_u32 v39, s6, v16, v41
	s_delay_alu instid0(VALU_DEP_1) | instskip(SKIP_1) | instid1(SALU_CYCLE_1)
	v_add_co_ci_u32_e64 v42, s6, v17, v42, s6
	s_and_b32 s6, s5, vcc_lo
	s_and_b32 s44, s0, s6
	s_delay_alu instid0(SALU_CYCLE_1)
	s_and_saveexec_b32 s45, s44
	s_cbranch_execz .LBB8_22
; %bb.21:                               ;   in Loop: Header=BB8_9 Depth=2
	v_lshlrev_b64 v[43:44], 1, v[8:9]
	s_delay_alu instid0(VALU_DEP_1) | instskip(NEXT) | instid1(VALU_DEP_1)
	v_add_co_u32 v43, s6, v39, v43
	v_add_co_ci_u32_e64 v44, s6, v42, v44, s6
	global_load_u16 v35, v[43:44], off
.LBB8_22:                               ;   in Loop: Header=BB8_9 Depth=2
	s_or_b32 exec_lo, exec_lo, s45
	v_mov_b32_e32 v37, 0
	v_mov_b32_e32 v41, 0
	s_and_b32 s6, s5, s3
	s_delay_alu instid0(SALU_CYCLE_1) | instskip(NEXT) | instid1(SALU_CYCLE_1)
	s_and_b32 s46, s0, s6
	s_and_saveexec_b32 s45, s46
	s_cbranch_execz .LBB8_24
; %bb.23:                               ;   in Loop: Header=BB8_9 Depth=2
	v_lshlrev_b64 v[43:44], 1, v[10:11]
	s_delay_alu instid0(VALU_DEP_1) | instskip(NEXT) | instid1(VALU_DEP_1)
	v_add_co_u32 v43, s6, v39, v43
	v_add_co_ci_u32_e64 v44, s6, v42, v44, s6
	global_load_u16 v41, v[43:44], off
.LBB8_24:                               ;   in Loop: Header=BB8_9 Depth=2
	s_or_b32 exec_lo, exec_lo, s45
	s_and_b32 s5, s5, s4
	s_delay_alu instid0(SALU_CYCLE_1) | instskip(NEXT) | instid1(SALU_CYCLE_1)
	s_and_b32 s45, s0, s5
	s_and_saveexec_b32 s6, s45
	s_cbranch_execz .LBB8_26
; %bb.25:                               ;   in Loop: Header=BB8_9 Depth=2
	v_lshlrev_b64 v[43:44], 1, v[12:13]
	s_delay_alu instid0(VALU_DEP_1) | instskip(NEXT) | instid1(VALU_DEP_1)
	v_add_co_u32 v43, s5, v39, v43
	v_add_co_ci_u32_e64 v44, s5, v42, v44, s5
	global_load_u16 v37, v[43:44], off
.LBB8_26:                               ;   in Loop: Header=BB8_9 Depth=2
	s_or_b32 exec_lo, exec_lo, s6
	v_dual_mov_b32 v39, 0 :: v_dual_add_nc_u32 v42, s28, v40
	s_delay_alu instid0(VALU_DEP_1) | instskip(SKIP_1) | instid1(VALU_DEP_2)
	v_mul_lo_u32 v43, v42, s8
	v_cmp_lt_i32_e64 s5, v42, v29
	v_ashrrev_i32_e32 v44, 31, v43
	s_delay_alu instid0(VALU_DEP_1) | instskip(SKIP_1) | instid1(VALU_DEP_2)
	v_lshlrev_b64 v[44:45], 1, v[43:44]
	v_mov_b32_e32 v43, 0
	v_add_co_u32 v44, s6, v16, v44
	s_delay_alu instid0(VALU_DEP_1) | instskip(SKIP_1) | instid1(SALU_CYCLE_1)
	v_add_co_ci_u32_e64 v45, s6, v17, v45, s6
	s_and_b32 s6, s5, vcc_lo
	s_and_b32 s47, s0, s6
	s_delay_alu instid0(SALU_CYCLE_1)
	s_and_saveexec_b32 s6, s47
	s_cbranch_execz .LBB8_28
; %bb.27:                               ;   in Loop: Header=BB8_9 Depth=2
	v_lshlrev_b64 v[8:9], 1, v[8:9]
	s_delay_alu instid0(VALU_DEP_1) | instskip(NEXT) | instid1(VALU_DEP_2)
	v_add_co_u32 v8, vcc_lo, v44, v8
	v_add_co_ci_u32_e32 v9, vcc_lo, v45, v9, vcc_lo
	global_load_u16 v43, v[8:9], off
.LBB8_28:                               ;   in Loop: Header=BB8_9 Depth=2
	s_or_b32 exec_lo, exec_lo, s6
	s_and_b32 s3, s5, s3
	s_delay_alu instid0(SALU_CYCLE_1) | instskip(NEXT) | instid1(SALU_CYCLE_1)
	s_and_b32 s6, s0, s3
	s_and_saveexec_b32 s3, s6
	s_cbranch_execz .LBB8_30
; %bb.29:                               ;   in Loop: Header=BB8_9 Depth=2
	v_lshlrev_b64 v[8:9], 1, v[10:11]
	s_delay_alu instid0(VALU_DEP_1) | instskip(NEXT) | instid1(VALU_DEP_2)
	v_add_co_u32 v8, vcc_lo, v44, v8
	v_add_co_ci_u32_e32 v9, vcc_lo, v45, v9, vcc_lo
	global_load_u16 v39, v[8:9], off
.LBB8_30:                               ;   in Loop: Header=BB8_9 Depth=2
	s_or_b32 exec_lo, exec_lo, s3
	v_mov_b32_e32 v8, 0
	s_and_b32 s3, s5, s4
	s_delay_alu instid0(SALU_CYCLE_1) | instskip(NEXT) | instid1(SALU_CYCLE_1)
	s_and_b32 s4, s0, s3
	s_and_saveexec_b32 s3, s4
	s_cbranch_execz .LBB8_32
; %bb.31:                               ;   in Loop: Header=BB8_9 Depth=2
	v_lshlrev_b64 v[8:9], 1, v[12:13]
	s_delay_alu instid0(VALU_DEP_1) | instskip(NEXT) | instid1(VALU_DEP_2)
	v_add_co_u32 v8, vcc_lo, v44, v8
	v_add_co_ci_u32_e32 v9, vcc_lo, v45, v9, vcc_lo
	global_load_u16 v8, v[8:9], off
.LBB8_32:                               ;   in Loop: Header=BB8_9 Depth=2
	s_or_b32 exec_lo, exec_lo, s3
	v_mul_lo_u32 v9, v5, s19
	s_and_saveexec_b32 s5, s38
	s_cbranch_execz .LBB8_35
; %bb.33:                               ;   in Loop: Header=BB8_9 Depth=2
	ds_load_u16 v10, v18
	s_waitcnt vmcnt(0)
	v_cmp_u_f16_e64 s3, v36, v36
	s_waitcnt lgkmcnt(0)
	v_cmp_lt_f16_e32 vcc_lo, v10, v36
	s_delay_alu instid0(VALU_DEP_2) | instskip(NEXT) | instid1(SALU_CYCLE_1)
	s_or_b32 s3, vcc_lo, s3
	s_and_b32 exec_lo, exec_lo, s3
	s_cbranch_execz .LBB8_35
; %bb.34:                               ;   in Loop: Header=BB8_9 Depth=2
	v_add_nc_u32_e32 v10, v31, v9
	ds_store_b16 v18, v36
	ds_store_b32 v19, v10
.LBB8_35:                               ;   in Loop: Header=BB8_9 Depth=2
	s_or_b32 exec_lo, exec_lo, s5
	s_and_saveexec_b32 s5, s39
	s_cbranch_execz .LBB8_38
; %bb.36:                               ;   in Loop: Header=BB8_9 Depth=2
	ds_load_u16 v10, v18
	s_waitcnt vmcnt(0)
	v_cmp_u_f16_e64 s3, v34, v34
	s_waitcnt lgkmcnt(0)
	v_cmp_lt_f16_e32 vcc_lo, v10, v34
	s_delay_alu instid0(VALU_DEP_2) | instskip(NEXT) | instid1(SALU_CYCLE_1)
	s_or_b32 s3, vcc_lo, s3
	s_and_b32 exec_lo, exec_lo, s3
	s_cbranch_execz .LBB8_38
; %bb.37:                               ;   in Loop: Header=BB8_9 Depth=2
	v_add_nc_u32_e32 v10, v32, v9
	ds_store_b16 v18, v34
	ds_store_b32 v19, v10
.LBB8_38:                               ;   in Loop: Header=BB8_9 Depth=2
	s_or_b32 exec_lo, exec_lo, s5
	s_and_saveexec_b32 s5, s43
	s_cbranch_execz .LBB8_41
; %bb.39:                               ;   in Loop: Header=BB8_9 Depth=2
	ds_load_u16 v10, v18
	s_waitcnt vmcnt(0)
	v_cmp_u_f16_e64 s3, v38, v38
	s_waitcnt lgkmcnt(0)
	v_cmp_lt_f16_e32 vcc_lo, v10, v38
	s_delay_alu instid0(VALU_DEP_2) | instskip(NEXT) | instid1(SALU_CYCLE_1)
	s_or_b32 s3, vcc_lo, s3
	s_and_b32 exec_lo, exec_lo, s3
	s_cbranch_execz .LBB8_41
; %bb.40:                               ;   in Loop: Header=BB8_9 Depth=2
	v_add_nc_u32_e32 v9, v33, v9
	ds_store_b16 v18, v38
	ds_store_b32 v19, v9
.LBB8_41:                               ;   in Loop: Header=BB8_9 Depth=2
	s_or_b32 exec_lo, exec_lo, s5
	v_mul_lo_u32 v9, v40, s19
	s_and_saveexec_b32 s5, s44
	s_cbranch_execz .LBB8_44
; %bb.42:                               ;   in Loop: Header=BB8_9 Depth=2
	ds_load_u16 v10, v18
	s_waitcnt vmcnt(0)
	v_cmp_u_f16_e64 s3, v35, v35
	s_waitcnt lgkmcnt(0)
	v_cmp_lt_f16_e32 vcc_lo, v10, v35
	s_delay_alu instid0(VALU_DEP_2) | instskip(NEXT) | instid1(SALU_CYCLE_1)
	s_or_b32 s3, vcc_lo, s3
	s_and_b32 exec_lo, exec_lo, s3
	s_cbranch_execz .LBB8_44
; %bb.43:                               ;   in Loop: Header=BB8_9 Depth=2
	v_add_nc_u32_e32 v10, v31, v9
	ds_store_b16 v18, v35
	ds_store_b32 v19, v10
.LBB8_44:                               ;   in Loop: Header=BB8_9 Depth=2
	s_or_b32 exec_lo, exec_lo, s5
	s_and_saveexec_b32 s5, s46
	s_cbranch_execz .LBB8_47
; %bb.45:                               ;   in Loop: Header=BB8_9 Depth=2
	ds_load_u16 v10, v18
	s_waitcnt vmcnt(0)
	v_cmp_u_f16_e64 s3, v41, v41
	s_waitcnt lgkmcnt(0)
	v_cmp_lt_f16_e32 vcc_lo, v10, v41
	s_delay_alu instid0(VALU_DEP_2) | instskip(NEXT) | instid1(SALU_CYCLE_1)
	s_or_b32 s3, vcc_lo, s3
	s_and_b32 exec_lo, exec_lo, s3
	s_cbranch_execz .LBB8_47
; %bb.46:                               ;   in Loop: Header=BB8_9 Depth=2
	v_add_nc_u32_e32 v10, v32, v9
	ds_store_b16 v18, v41
	ds_store_b32 v19, v10
.LBB8_47:                               ;   in Loop: Header=BB8_9 Depth=2
	s_or_b32 exec_lo, exec_lo, s5
	s_and_saveexec_b32 s5, s45
	s_cbranch_execz .LBB8_50
; %bb.48:                               ;   in Loop: Header=BB8_9 Depth=2
	ds_load_u16 v10, v18
	s_waitcnt vmcnt(0)
	v_cmp_u_f16_e64 s3, v37, v37
	s_waitcnt lgkmcnt(0)
	v_cmp_lt_f16_e32 vcc_lo, v10, v37
	s_delay_alu instid0(VALU_DEP_2) | instskip(NEXT) | instid1(SALU_CYCLE_1)
	s_or_b32 s3, vcc_lo, s3
	s_and_b32 exec_lo, exec_lo, s3
	s_cbranch_execz .LBB8_50
; %bb.49:                               ;   in Loop: Header=BB8_9 Depth=2
	v_add_nc_u32_e32 v9, v33, v9
	ds_store_b16 v18, v37
	ds_store_b32 v19, v9
.LBB8_50:                               ;   in Loop: Header=BB8_9 Depth=2
	;; [unrolled: 55-line block ×3, first 2 shown]
	s_or_b32 exec_lo, exec_lo, s5
	s_branch .LBB8_13
.LBB8_60:                               ;   in Loop: Header=BB8_9 Depth=2
	s_delay_alu instid0(VALU_DEP_1)
	s_and_saveexec_b32 s4, s2
	s_cbranch_execz .LBB8_71
; %bb.61:                               ;   in Loop: Header=BB8_9 Depth=2
	v_cmp_lt_i32_e32 vcc_lo, v31, v6
	v_mov_b32_e32 v10, v5
	s_mov_b32 s5, 0
	s_branch .LBB8_63
.LBB8_62:                               ;   in Loop: Header=BB8_63 Depth=3
	s_or_b32 exec_lo, exec_lo, s6
	v_add_nc_u32_e32 v10, s28, v10
	s_delay_alu instid0(VALU_DEP_1) | instskip(NEXT) | instid1(VALU_DEP_1)
	v_cmp_ge_i32_e64 s2, v10, v29
	s_or_b32 s5, s2, s5
	s_delay_alu instid0(SALU_CYCLE_1)
	s_and_not1_b32 exec_lo, exec_lo, s5
	s_cbranch_execz .LBB8_71
.LBB8_63:                               ;   Parent Loop BB8_6 Depth=1
                                        ;     Parent Loop BB8_9 Depth=2
                                        ; =>    This Loop Header: Depth=3
                                        ;         Child Loop BB8_66 Depth 4
                                        ;           Child Loop BB8_69 Depth 5
	s_and_saveexec_b32 s6, vcc_lo
	s_cbranch_execz .LBB8_62
; %bb.64:                               ;   in Loop: Header=BB8_63 Depth=3
	s_waitcnt vmcnt(0)
	v_mul_lo_u32 v8, v10, s8
	v_mul_lo_u32 v11, v10, s19
	v_mov_b32_e32 v32, v31
	s_mov_b32 s38, 0
	s_delay_alu instid0(VALU_DEP_3) | instskip(NEXT) | instid1(VALU_DEP_1)
	v_ashrrev_i32_e32 v9, 31, v8
	v_lshlrev_b64 v[8:9], 1, v[8:9]
	s_delay_alu instid0(VALU_DEP_1) | instskip(NEXT) | instid1(VALU_DEP_1)
	v_add_co_u32 v12, s2, s16, v8
	v_add_co_ci_u32_e64 v13, s2, s20, v9, s2
	s_branch .LBB8_66
.LBB8_65:                               ;   in Loop: Header=BB8_66 Depth=4
	s_set_inst_prefetch_distance 0x2
	s_or_b32 exec_lo, exec_lo, s39
	v_add_nc_u32_e32 v32, s29, v32
	s_delay_alu instid0(VALU_DEP_1) | instskip(NEXT) | instid1(VALU_DEP_1)
	v_cmp_ge_i32_e64 s2, v32, v6
	s_or_b32 s38, s2, s38
	s_delay_alu instid0(SALU_CYCLE_1)
	s_and_not1_b32 exec_lo, exec_lo, s38
	s_cbranch_execz .LBB8_62
.LBB8_66:                               ;   Parent Loop BB8_6 Depth=1
                                        ;     Parent Loop BB8_9 Depth=2
                                        ;       Parent Loop BB8_63 Depth=3
                                        ; =>      This Loop Header: Depth=4
                                        ;           Child Loop BB8_69 Depth 5
	s_and_saveexec_b32 s39, s0
	s_cbranch_execz .LBB8_65
; %bb.67:                               ;   in Loop: Header=BB8_66 Depth=4
	v_mul_lo_u32 v8, v32, s9
	v_dual_mov_b32 v34, v23 :: v_dual_add_nc_u32 v33, v32, v11
	v_dual_mov_b32 v35, v22 :: v_dual_mov_b32 v38, v1
	s_mov_b32 s43, 0
	s_delay_alu instid0(VALU_DEP_3) | instskip(NEXT) | instid1(VALU_DEP_1)
	v_ashrrev_i32_e32 v9, 31, v8
	v_lshlrev_b64 v[36:37], 1, v[8:9]
	v_mov_b32_e32 v8, v4
	s_delay_alu instid0(VALU_DEP_2) | instskip(NEXT) | instid1(VALU_DEP_1)
	v_add_co_u32 v36, s2, v12, v36
	v_add_co_ci_u32_e64 v37, s2, v13, v37, s2
	s_set_inst_prefetch_distance 0x1
	s_branch .LBB8_69
	.p2align	6
.LBB8_68:                               ;   in Loop: Header=BB8_69 Depth=5
	s_or_b32 exec_lo, exec_lo, s2
	v_add_nc_u32_e32 v38, s12, v38
	v_add_nc_u32_e32 v8, s31, v8
	;; [unrolled: 1-line block ×4, first 2 shown]
	s_delay_alu instid0(VALU_DEP_4) | instskip(NEXT) | instid1(VALU_DEP_1)
	v_cmp_le_i32_e64 s2, s17, v38
	s_or_b32 s43, s2, s43
	s_delay_alu instid0(SALU_CYCLE_1)
	s_and_not1_b32 exec_lo, exec_lo, s43
	s_cbranch_execz .LBB8_65
.LBB8_69:                               ;   Parent Loop BB8_6 Depth=1
                                        ;     Parent Loop BB8_9 Depth=2
                                        ;       Parent Loop BB8_63 Depth=3
                                        ;         Parent Loop BB8_66 Depth=4
                                        ; =>        This Inner Loop Header: Depth=5
	v_ashrrev_i32_e32 v9, 31, v8
	s_delay_alu instid0(VALU_DEP_1) | instskip(NEXT) | instid1(VALU_DEP_1)
	v_lshlrev_b64 v[39:40], 1, v[8:9]
	v_add_co_u32 v39, s2, v36, v39
	s_delay_alu instid0(VALU_DEP_1)
	v_add_co_ci_u32_e64 v40, s2, v37, v40, s2
	global_load_u16 v9, v[39:40], off
	ds_load_u16 v39, v35
	s_waitcnt vmcnt(0) lgkmcnt(0)
	v_cmp_lt_f16_e64 s2, v39, v9
	v_cmp_u_f16_e64 s3, v9, v9
	s_delay_alu instid0(VALU_DEP_1) | instskip(NEXT) | instid1(SALU_CYCLE_1)
	s_or_b32 s3, s2, s3
	s_and_saveexec_b32 s2, s3
	s_cbranch_execz .LBB8_68
; %bb.70:                               ;   in Loop: Header=BB8_69 Depth=5
	ds_store_b16 v35, v9
	ds_store_b32 v34, v33
	s_branch .LBB8_68
.LBB8_71:                               ;   in Loop: Header=BB8_9 Depth=2
	s_or_b32 exec_lo, exec_lo, s4
	s_and_saveexec_b32 s3, s0
	s_cbranch_execz .LBB8_8
.LBB8_72:                               ;   in Loop: Header=BB8_9 Depth=2
	s_waitcnt vmcnt(0)
	v_ashrrev_i32_e32 v8, 31, v7
	v_dual_mov_b32 v6, v23 :: v_dual_mov_b32 v13, v1
	s_mov_b32 s4, 0
	s_delay_alu instid0(VALU_DEP_2) | instskip(SKIP_1) | instid1(VALU_DEP_2)
	v_lshlrev_b64 v[9:10], 1, v[7:8]
	v_lshlrev_b64 v[11:12], 3, v[7:8]
	v_add_co_u32 v8, vcc_lo, v24, v9
	s_delay_alu instid0(VALU_DEP_3) | instskip(NEXT) | instid1(VALU_DEP_3)
	v_add_co_ci_u32_e32 v9, vcc_lo, v25, v10, vcc_lo
	v_add_co_u32 v10, vcc_lo, v2, v11
	s_delay_alu instid0(VALU_DEP_4)
	v_add_co_ci_u32_e32 v11, vcc_lo, v27, v12, vcc_lo
	v_mov_b32_e32 v12, v22
	.p2align	6
.LBB8_73:                               ;   Parent Loop BB8_6 Depth=1
                                        ;     Parent Loop BB8_9 Depth=2
                                        ; =>    This Inner Loop Header: Depth=3
	ds_load_b32 v31, v6
	ds_load_u16 v32, v12
	v_add_nc_u32_e32 v13, s12, v13
	ds_store_b16 v12, v28
	ds_store_b32 v6, v21
	v_add_nc_u32_e32 v12, s41, v12
	v_add_nc_u32_e32 v6, s42, v6
	v_cmp_le_i32_e32 vcc_lo, s17, v13
	s_or_b32 s4, vcc_lo, s4
	s_waitcnt lgkmcnt(2)
	global_store_b16 v[8:9], v32, off
	v_ashrrev_i32_e32 v32, 31, v31
	v_add_co_u32 v8, s2, v8, s10
	s_delay_alu instid0(VALU_DEP_1) | instskip(SKIP_2) | instid1(VALU_DEP_1)
	v_add_co_ci_u32_e64 v9, s2, s11, v9, s2
	global_store_b64 v[10:11], v[31:32], off
	v_add_co_u32 v10, s2, v10, s14
	v_add_co_ci_u32_e64 v11, s2, s15, v11, s2
	s_and_not1_b32 exec_lo, exec_lo, s4
	s_cbranch_execnz .LBB8_73
	s_branch .LBB8_8
.LBB8_74:
	s_nop 0
	s_sendmsg sendmsg(MSG_DEALLOC_VGPRS)
	s_endpgm
	.section	.rodata,"a",@progbits
	.p2align	6, 0x0
	.amdhsa_kernel _ZN2at6native12_GLOBAL__N_121max_pool_forward_nhwcIN3c104HalfEiEEvPKT_iT0_S8_S8_S8_S8_iiiiiiiiS8_S8_S8_S8_iiPS5_Pl
		.amdhsa_group_segment_fixed_size 0
		.amdhsa_private_segment_fixed_size 0
		.amdhsa_kernarg_size 360
		.amdhsa_user_sgpr_count 13
		.amdhsa_user_sgpr_dispatch_ptr 0
		.amdhsa_user_sgpr_queue_ptr 0
		.amdhsa_user_sgpr_kernarg_segment_ptr 1
		.amdhsa_user_sgpr_dispatch_id 0
		.amdhsa_user_sgpr_private_segment_size 0
		.amdhsa_wavefront_size32 1
		.amdhsa_uses_dynamic_stack 0
		.amdhsa_enable_private_segment 0
		.amdhsa_system_sgpr_workgroup_id_x 1
		.amdhsa_system_sgpr_workgroup_id_y 1
		.amdhsa_system_sgpr_workgroup_id_z 1
		.amdhsa_system_sgpr_workgroup_info 0
		.amdhsa_system_vgpr_workitem_id 2
		.amdhsa_next_free_vgpr 46
		.amdhsa_next_free_sgpr 48
		.amdhsa_reserve_vcc 1
		.amdhsa_float_round_mode_32 0
		.amdhsa_float_round_mode_16_64 0
		.amdhsa_float_denorm_mode_32 3
		.amdhsa_float_denorm_mode_16_64 3
		.amdhsa_dx10_clamp 1
		.amdhsa_ieee_mode 1
		.amdhsa_fp16_overflow 0
		.amdhsa_workgroup_processor_mode 1
		.amdhsa_memory_ordered 1
		.amdhsa_forward_progress 0
		.amdhsa_shared_vgpr_count 0
		.amdhsa_exception_fp_ieee_invalid_op 0
		.amdhsa_exception_fp_denorm_src 0
		.amdhsa_exception_fp_ieee_div_zero 0
		.amdhsa_exception_fp_ieee_overflow 0
		.amdhsa_exception_fp_ieee_underflow 0
		.amdhsa_exception_fp_ieee_inexact 0
		.amdhsa_exception_int_div_zero 0
	.end_amdhsa_kernel
	.section	.text._ZN2at6native12_GLOBAL__N_121max_pool_forward_nhwcIN3c104HalfEiEEvPKT_iT0_S8_S8_S8_S8_iiiiiiiiS8_S8_S8_S8_iiPS5_Pl,"axG",@progbits,_ZN2at6native12_GLOBAL__N_121max_pool_forward_nhwcIN3c104HalfEiEEvPKT_iT0_S8_S8_S8_S8_iiiiiiiiS8_S8_S8_S8_iiPS5_Pl,comdat
.Lfunc_end8:
	.size	_ZN2at6native12_GLOBAL__N_121max_pool_forward_nhwcIN3c104HalfEiEEvPKT_iT0_S8_S8_S8_S8_iiiiiiiiS8_S8_S8_S8_iiPS5_Pl, .Lfunc_end8-_ZN2at6native12_GLOBAL__N_121max_pool_forward_nhwcIN3c104HalfEiEEvPKT_iT0_S8_S8_S8_S8_iiiiiiiiS8_S8_S8_S8_iiPS5_Pl
                                        ; -- End function
	.section	.AMDGPU.csdata,"",@progbits
; Kernel info:
; codeLenInByte = 3596
; NumSgprs: 50
; NumVgprs: 46
; ScratchSize: 0
; MemoryBound: 0
; FloatMode: 240
; IeeeMode: 1
; LDSByteSize: 0 bytes/workgroup (compile time only)
; SGPRBlocks: 6
; VGPRBlocks: 5
; NumSGPRsForWavesPerEU: 50
; NumVGPRsForWavesPerEU: 46
; Occupancy: 16
; WaveLimiterHint : 1
; COMPUTE_PGM_RSRC2:SCRATCH_EN: 0
; COMPUTE_PGM_RSRC2:USER_SGPR: 13
; COMPUTE_PGM_RSRC2:TRAP_HANDLER: 0
; COMPUTE_PGM_RSRC2:TGID_X_EN: 1
; COMPUTE_PGM_RSRC2:TGID_Y_EN: 1
; COMPUTE_PGM_RSRC2:TGID_Z_EN: 1
; COMPUTE_PGM_RSRC2:TIDIG_COMP_CNT: 2
	.section	.text._ZN2at6native12_GLOBAL__N_121max_pool_forward_nhwcIN3c104HalfElEEvPKT_iT0_S8_S8_S8_S8_iiiiiiiiS8_S8_S8_S8_iiPS5_Pl,"axG",@progbits,_ZN2at6native12_GLOBAL__N_121max_pool_forward_nhwcIN3c104HalfElEEvPKT_iT0_S8_S8_S8_S8_iiiiiiiiS8_S8_S8_S8_iiPS5_Pl,comdat
	.globl	_ZN2at6native12_GLOBAL__N_121max_pool_forward_nhwcIN3c104HalfElEEvPKT_iT0_S8_S8_S8_S8_iiiiiiiiS8_S8_S8_S8_iiPS5_Pl ; -- Begin function _ZN2at6native12_GLOBAL__N_121max_pool_forward_nhwcIN3c104HalfElEEvPKT_iT0_S8_S8_S8_S8_iiiiiiiiS8_S8_S8_S8_iiPS5_Pl
	.p2align	8
	.type	_ZN2at6native12_GLOBAL__N_121max_pool_forward_nhwcIN3c104HalfElEEvPKT_iT0_S8_S8_S8_S8_iiiiiiiiS8_S8_S8_S8_iiPS5_Pl,@function
_ZN2at6native12_GLOBAL__N_121max_pool_forward_nhwcIN3c104HalfElEEvPKT_iT0_S8_S8_S8_S8_iiiiiiiiS8_S8_S8_S8_iiPS5_Pl: ; @_ZN2at6native12_GLOBAL__N_121max_pool_forward_nhwcIN3c104HalfElEEvPKT_iT0_S8_S8_S8_S8_iiiiiiiiS8_S8_S8_S8_iiPS5_Pl
; %bb.0:
	s_clause 0x1
	s_load_b128 s[4:7], s[0:1], 0x94
	s_load_b64 s[44:45], s[0:1], 0x78
	v_bfe_u32 v5, v0, 10, 10
	v_bfe_u32 v2, v0, 20, 10
	v_and_b32_e32 v6, 0x3ff, v0
	s_waitcnt lgkmcnt(0)
	s_lshr_b32 s33, s6, 16
	s_and_b32 s3, s6, 0xffff
	v_mad_u32_u24 v7, v2, s33, v5
	s_mul_i32 s2, s3, s45
	s_and_b32 s46, s7, 0xffff
	s_mul_i32 s6, s2, s33
	s_mov_b32 s7, exec_lo
	v_mad_u64_u32 v[0:1], null, v7, s3, v[6:7]
	s_mul_i32 s6, s6, s46
	s_delay_alu instid0(VALU_DEP_1) | instid1(SALU_CYCLE_1)
	v_cmpx_gt_u32_e64 s6, v0
	s_cbranch_execz .LBB9_3
; %bb.1:
	v_mov_b32_e32 v3, 0
	v_lshlrev_b32_e32 v1, 1, v0
	s_lshl_b32 s9, s6, 3
	s_mul_i32 s8, s33, s3
	v_lshl_add_u32 v8, v0, 3, 0
	v_mov_b32_e32 v4, v3
	v_add3_u32 v1, 0, s9, v1
	v_mov_b32_e32 v9, 0xfffffc00
	s_mul_i32 s8, s8, s46
	s_mov_b32 s9, 0
	s_lshl_b32 s10, s8, 1
	s_lshl_b32 s11, s8, 3
.LBB9_2:                                ; =>This Inner Loop Header: Depth=1
	v_add_nc_u32_e32 v0, s8, v0
	ds_store_b16 v1, v9
	ds_store_b64 v8, v[3:4]
	v_add_nc_u32_e32 v1, s10, v1
	v_add_nc_u32_e32 v8, s11, v8
	v_cmp_le_u32_e32 vcc_lo, s6, v0
	s_or_b32 s9, vcc_lo, s9
	s_delay_alu instid0(SALU_CYCLE_1)
	s_and_not1_b32 exec_lo, exec_lo, s9
	s_cbranch_execnz .LBB9_2
.LBB9_3:
	s_or_b32 exec_lo, exec_lo, s7
	v_cvt_f32_u32_e32 v0, s5
	s_clause 0x1
	s_load_b32 s7, s[0:1], 0x8
	s_load_b256 s[16:23], s[0:1], 0x10
	s_sub_i32 s9, 0, s5
	s_waitcnt lgkmcnt(0)
	s_barrier
	v_rcp_iflag_f32_e32 v0, v0
	buffer_gl0_inv
	v_mul_f32_e32 v0, 0x4f7ffffe, v0
	s_delay_alu instid0(VALU_DEP_1) | instskip(SKIP_1) | instid1(SALU_CYCLE_1)
	v_cvt_u32_f32_e32 v0, v0
	s_add_i32 s10, s22, s5
	s_add_i32 s10, s10, -1
	s_delay_alu instid0(VALU_DEP_1) | instskip(SKIP_1) | instid1(VALU_DEP_2)
	v_readfirstlane_b32 s8, v0
	v_cvt_f32_u32_e32 v0, s7
	s_mul_i32 s9, s9, s8
	s_delay_alu instid0(VALU_DEP_1) | instskip(SKIP_3) | instid1(SALU_CYCLE_1)
	v_rcp_iflag_f32_e32 v3, v0
	s_mul_hi_u32 s9, s8, s9
	v_cvt_f32_u32_e32 v0, s4
	s_add_i32 s8, s8, s9
	s_mul_hi_u32 s8, s10, s8
	s_delay_alu instid0(VALU_DEP_1) | instskip(SKIP_1) | instid1(SALU_CYCLE_1)
	v_rcp_iflag_f32_e32 v4, v0
	s_mul_i32 s9, s8, s5
	s_sub_i32 s9, s10, s9
	s_add_i32 s10, s8, 1
	s_sub_i32 s11, s9, s5
	s_cmp_ge_u32 s9, s5
	s_cselect_b32 s8, s10, s8
	s_cselect_b32 s9, s11, s9
	s_add_i32 s10, s8, 1
	s_cmp_ge_u32 s9, s5
	s_mov_b32 s9, exec_lo
	s_cselect_b32 s5, s10, s8
	s_waitcnt_depctr 0xfff
	v_mad_u64_u32 v[0:1], null, s5, s15, v[2:3]
	v_dual_mul_f32 v1, 0x4f7ffffe, v3 :: v_dual_mul_f32 v2, 0x4f7ffffe, v4
	s_mov_b32 s15, 0
	s_delay_alu instid0(VALU_DEP_1) | instskip(NEXT) | instid1(VALU_DEP_3)
	v_cvt_u32_f32_e32 v1, v1
	v_add_nc_u32_e32 v3, s5, v0
	s_delay_alu instid0(VALU_DEP_3) | instskip(NEXT) | instid1(VALU_DEP_3)
	v_cvt_u32_f32_e32 v2, v2
	v_readfirstlane_b32 s8, v1
	s_delay_alu instid0(VALU_DEP_3) | instskip(NEXT) | instid1(VALU_DEP_3)
	v_min_i32_e32 v36, s22, v3
	v_readfirstlane_b32 s5, v2
	s_delay_alu instid0(VALU_DEP_2)
	v_cmpx_lt_i32_e64 v0, v36
	s_cbranch_execz .LBB9_78
; %bb.4:
	s_clause 0x1
	s_load_b64 s[34:35], s[0:1], 0x30
	s_load_b64 s[48:49], s[0:1], 0x0
	s_sub_i32 s9, 0, s7
	s_sub_i32 s10, 0, s4
	s_mul_i32 s9, s9, s8
	s_mul_i32 s10, s10, s5
	s_mul_hi_u32 s9, s8, s9
	s_load_b256 s[24:31], s[0:1], 0x58
	s_add_i32 s8, s8, s9
	s_mul_hi_u32 s9, s5, s10
	s_mul_hi_u32 s8, s13, s8
	s_add_i32 s12, s5, s9
	s_mul_i32 s5, s8, s7
	s_lshl_b32 s6, s6, 3
	s_sub_i32 s5, s13, s5
	s_add_i32 s6, s6, 0
	s_add_i32 s9, s8, 1
	s_sub_i32 s11, s5, s7
	v_mul_lo_u32 v3, s2, v7
	s_load_b256 s[36:43], s[0:1], 0x38
	s_waitcnt lgkmcnt(0)
	s_add_i32 s10, s34, s4
	v_mov_b32_e32 v46, 0xfffffc00
	s_add_i32 s50, s10, -1
	s_cmp_ge_u32 s5, s7
	s_mul_hi_u32 s12, s50, s12
	s_cselect_b32 s2, s9, s8
	s_cselect_b32 s5, s11, s5
	s_add_i32 s8, s2, 1
	s_cmp_ge_u32 s5, s7
	v_lshlrev_b32_e32 v10, 1, v3
	s_cselect_b32 s2, s8, s2
	s_load_b128 s[8:11], s[0:1], 0x80
	s_mul_i32 s5, s2, s7
	v_mad_u64_u32 v[1:2], null, s2, s3, v[6:7]
	s_sub_i32 s5, s13, s5
	v_lshlrev_b32_e32 v11, 3, v3
	s_mul_i32 s0, s5, s25
	s_mul_hi_u32 s1, s5, s24
	s_ashr_i32 s7, s5, 31
	s_add_i32 s1, s1, s0
	s_mul_i32 s13, s7, s24
	s_mul_i32 s0, s5, s24
	s_add_i32 s1, s1, s13
	s_mul_i32 s13, s12, s4
	s_lshl_b64 s[0:1], s[0:1], 1
	v_ashrrev_i32_e32 v2, 31, v1
	s_add_u32 s47, s48, s0
	s_addc_u32 s48, s49, s1
	s_sub_i32 s0, s50, s13
	s_add_i32 s1, s12, 1
	s_sub_i32 s13, s0, s4
	s_cmp_ge_u32 s0, s4
	v_mul_lo_u32 v8, v1, s27
	s_cselect_b32 s1, s1, s12
	s_cselect_b32 s0, s13, s0
	s_add_i32 s2, s1, 1
	s_cmp_ge_u32 s0, s4
	v_mul_lo_u32 v9, v2, s26
	s_cselect_b32 s0, s2, s1
	s_add_i32 s1, s37, -1
	v_mad_u64_u32 v[3:4], null, s0, s14, v[5:6]
	v_mad_u64_u32 v[4:5], null, v1, s26, 0
	s_mul_i32 s1, s1, s43
	s_mul_i32 s14, s3, s44
	s_add_i32 s53, s1, 1
	s_max_i32 s1, s36, s37
	s_delay_alu instid0(VALU_DEP_2) | instskip(SKIP_1) | instid1(VALU_DEP_2)
	v_add_nc_u32_e32 v12, s0, v3
	s_add_i32 s0, s36, -1
	v_add3_u32 v5, v5, v8, v9
	s_mul_i32 s0, s0, s42
	s_mul_i32 s37, s33, s46
	s_add_i32 s51, s0, 1
	s_ashr_i32 s13, s42, 31
	v_lshlrev_b64 v[8:9], 1, v[4:5]
	s_mov_b32 s12, s42
	v_cmp_ge_i64_e64 s2, s[14:15], s[16:17]
	s_mov_b32 s49, s40
	s_ashr_i32 s40, s40, 31
	s_ashr_i32 s50, s41, 31
	v_add_co_u32 v38, vcc_lo, s47, v8
	v_add_co_ci_u32_e32 v39, vcc_lo, s48, v9, vcc_lo
	v_lshlrev_b32_e32 v9, 1, v7
	s_ashr_i32 s52, s51, 31
	s_ashr_i32 s55, s53, 31
	;; [unrolled: 1-line block ×3, first 2 shown]
	v_cmp_gt_u64_e64 s4, s[12:13], 1
	v_lshl_add_u32 v9, s37, 3, v9
	s_cmp_lt_i32 s1, 4
	v_lshlrev_b32_e32 v8, 1, v6
	s_cselect_b32 s1, -1, 0
	v_lshlrev_b32_e32 v6, 3, v6
	v_mul_lo_u32 v9, s45, v9
	s_and_b32 s58, s1, s2
	s_ashr_i32 s36, s44, 31
	s_and_b32 s4, s4, exec_lo
	s_mov_b32 s24, s14
	s_cselect_b32 s14, s13, 0
	s_cselect_b32 s59, s42, 1
	v_add3_u32 v40, s6, v10, v8
	v_add3_u32 v41, 0, v11, v6
	v_cvt_f32_u32_e32 v10, s59
	v_cvt_f32_u32_e32 v11, s14
	v_mul_lo_u32 v9, v9, s3
	v_mul_lo_u32 v7, s45, v7
	s_add_u32 s4, s41, s43
	s_addc_u32 s6, s50, s56
	v_fmac_f32_e32 v10, 0x4f800000, v11
	s_mov_b32 s54, s41
	s_sub_u32 s41, 0, s4
	s_subb_u32 s60, 0, s6
	v_add3_u32 v42, v9, v8, 0
	v_rcp_f32_e32 v8, v10
	v_mul_lo_u32 v7, v7, s3
	s_mul_hi_u32 s4, s26, s44
	s_mul_i32 s6, s26, s36
	v_min_i32_e32 v37, s34, v12
	s_add_i32 s4, s4, s6
	s_mul_i32 s6, s27, s44
	s_mul_hi_i32 s25, s3, s44
	s_add_i32 s4, s4, s6
	v_lshlrev_b32_e32 v7, 3, v7
	s_waitcnt_depctr 0xfff
	v_mul_f32_e32 v11, 0x5f7ffffc, v8
	s_mul_i32 s6, s26, s44
	s_mul_i32 s4, s4, s3
	s_mul_hi_u32 s26, s6, s3
	v_add3_u32 v43, v7, v6, 0
	v_mul_f32_e32 v10, 0x2f800000, v11
	v_lshlrev_b64 v[6:7], 3, v[1:2]
	v_lshlrev_b64 v[8:9], 1, v[1:2]
	s_add_i32 s44, s26, s4
	s_mul_i32 s45, s6, s3
	v_trunc_f32_e32 v12, v10
	s_mul_i32 s4, s34, s23
	s_mul_hi_u32 s6, s34, s22
	s_lshl_b32 s61, s3, 1
	s_lshl_b32 s62, s3, 3
	v_fmac_f32_e32 v11, 0xcf800000, v12
	s_add_i32 s3, s6, s4
	s_mul_i32 s4, s34, s22
	s_mul_i32 s6, s35, s22
	s_waitcnt lgkmcnt(0)
	v_add_co_u32 v6, vcc_lo, s10, v6
	s_mul_i32 s7, s4, s7
	s_mul_hi_u32 s22, s4, s5
	s_add_i32 s3, s3, s6
	v_add_co_ci_u32_e32 v7, vcc_lo, s11, v7, vcc_lo
	v_add_co_u32 v8, vcc_lo, s8, v8
	v_cmp_le_i64_e64 s1, s[16:17], v[1:2]
	v_cmp_gt_i64_e64 s2, s[16:17], v[1:2]
	s_add_i32 s6, s22, s7
	s_mul_i32 s3, s3, s5
	v_cmp_lt_i32_e64 s0, v3, v37
	v_add_co_ci_u32_e32 v9, vcc_lo, s9, v9, vcc_lo
	v_mov_b32_e32 v10, 0
	v_cvt_u32_f32_e32 v44, v11
	v_cvt_u32_f32_e32 v45, v12
	s_add_i32 s7, s6, s3
	s_mul_i32 s6, s4, s5
	s_mov_b32 s57, s43
	s_lshl_b64 s[10:11], s[6:7], 3
	s_lshl_b64 s[22:23], s[24:25], 3
	;; [unrolled: 1-line block ×4, first 2 shown]
	s_branch .LBB9_6
.LBB9_5:                                ;   in Loop: Header=BB9_6 Depth=1
	s_or_b32 exec_lo, exec_lo, s9
	v_add_nc_u32_e32 v0, s46, v0
	s_delay_alu instid0(VALU_DEP_1) | instskip(SKIP_1) | instid1(SALU_CYCLE_1)
	v_cmp_ge_i32_e32 vcc_lo, v0, v36
	s_or_b32 s15, vcc_lo, s15
	s_and_not1_b32 exec_lo, exec_lo, s15
	s_cbranch_execz .LBB9_78
.LBB9_6:                                ; =>This Loop Header: Depth=1
                                        ;     Child Loop BB9_9 Depth 2
                                        ;       Child Loop BB9_14 Depth 3
                                        ;       Child Loop BB9_67 Depth 3
                                        ;         Child Loop BB9_70 Depth 4
                                        ;           Child Loop BB9_73 Depth 5
                                        ;       Child Loop BB9_77 Depth 3
	s_and_saveexec_b32 s9, s0
	s_cbranch_execz .LBB9_5
; %bb.7:                                ;   in Loop: Header=BB9_6 Depth=1
	v_mad_i64_i32 v[11:12], null, v0, s38, 0
	v_ashrrev_i32_e32 v18, 31, v0
	v_mul_lo_u32 v19, s35, v0
	s_mov_b32 s63, 0
	v_mov_b32_e32 v47, v3
	s_delay_alu instid0(VALU_DEP_4) | instskip(SKIP_2) | instid1(VALU_DEP_3)
	v_sub_co_u32 v14, vcc_lo, v11, s49
	v_subrev_co_ci_u32_e32 v15, vcc_lo, s40, v12, vcc_lo
	v_mad_u64_u32 v[12:13], null, s34, v0, 0
	v_add_co_u32 v16, vcc_lo, v14, s51
	s_delay_alu instid0(VALU_DEP_3) | instskip(SKIP_1) | instid1(VALU_DEP_2)
	v_add_co_ci_u32_e32 v17, vcc_lo, s52, v15, vcc_lo
	v_mul_lo_u32 v11, s34, v18
	v_cmp_gt_i64_e32 vcc_lo, s[18:19], v[16:17]
	s_delay_alu instid0(VALU_DEP_2)
	v_add3_u32 v13, v13, v11, v19
	v_cndmask_b32_e32 v17, s19, v17, vcc_lo
	v_cndmask_b32_e32 v16, s18, v16, vcc_lo
	s_branch .LBB9_9
.LBB9_8:                                ;   in Loop: Header=BB9_9 Depth=2
	s_or_b32 exec_lo, exec_lo, s4
	v_add_nc_u32_e32 v47, s33, v47
	s_delay_alu instid0(VALU_DEP_1) | instskip(SKIP_1) | instid1(SALU_CYCLE_1)
	v_cmp_ge_i32_e32 vcc_lo, v47, v37
	s_or_b32 s63, vcc_lo, s63
	s_and_not1_b32 exec_lo, exec_lo, s63
	s_cbranch_execz .LBB9_5
.LBB9_9:                                ;   Parent Loop BB9_6 Depth=1
                                        ; =>  This Loop Header: Depth=2
                                        ;       Child Loop BB9_14 Depth 3
                                        ;       Child Loop BB9_67 Depth 3
                                        ;         Child Loop BB9_70 Depth 4
                                        ;           Child Loop BB9_73 Depth 5
                                        ;       Child Loop BB9_77 Depth 3
	v_cmp_lt_i64_e32 vcc_lo, 0, v[14:15]
	v_lshrrev_b32_e32 v24, 31, v15
	s_mov_b32 s3, exec_lo
	v_dual_cndmask_b32 v11, 0, v15 :: v_dual_cndmask_b32 v18, 0, v14
	s_delay_alu instid0(VALU_DEP_2) | instskip(SKIP_1) | instid1(VALU_DEP_2)
	v_add_co_u32 v19, vcc_lo, v14, v24
	v_add_co_ci_u32_e32 v20, vcc_lo, 0, v15, vcc_lo
	v_sub_co_u32 v18, vcc_lo, v18, v19
	s_delay_alu instid0(VALU_DEP_2) | instskip(NEXT) | instid1(VALU_DEP_1)
	v_sub_co_ci_u32_e32 v19, vcc_lo, v11, v20, vcc_lo
                                        ; implicit-def: $vgpr20_vgpr21
	v_or_b32_e32 v11, s14, v19
	s_delay_alu instid0(VALU_DEP_1)
	v_cmpx_ne_u64_e32 0, v[10:11]
	s_xor_b32 s4, exec_lo, s3
	s_cbranch_execz .LBB9_11
; %bb.10:                               ;   in Loop: Header=BB9_9 Depth=2
	s_sub_u32 s3, 0, s59
	s_subb_u32 s5, 0, s14
	v_mul_hi_u32 v11, s3, v44
	v_mul_lo_u32 v20, s3, v45
	v_mul_lo_u32 v21, s5, v44
	s_delay_alu instid0(VALU_DEP_2) | instskip(SKIP_1) | instid1(VALU_DEP_2)
	v_add_nc_u32_e32 v11, v11, v20
	v_mul_lo_u32 v20, s3, v44
	v_add_nc_u32_e32 v11, v11, v21
	s_delay_alu instid0(VALU_DEP_2) | instskip(NEXT) | instid1(VALU_DEP_2)
	v_mul_hi_u32 v21, v44, v20
	v_mul_lo_u32 v22, v44, v11
	v_mul_hi_u32 v23, v44, v11
	v_mul_hi_u32 v25, v45, v20
	v_mul_lo_u32 v20, v45, v20
	v_mul_hi_u32 v26, v45, v11
	v_mul_lo_u32 v11, v45, v11
	v_add_co_u32 v21, vcc_lo, v21, v22
	v_add_co_ci_u32_e32 v22, vcc_lo, 0, v23, vcc_lo
	s_delay_alu instid0(VALU_DEP_2) | instskip(NEXT) | instid1(VALU_DEP_2)
	v_add_co_u32 v20, vcc_lo, v21, v20
	v_add_co_ci_u32_e32 v20, vcc_lo, v22, v25, vcc_lo
	v_add_co_ci_u32_e32 v21, vcc_lo, 0, v26, vcc_lo
	s_delay_alu instid0(VALU_DEP_2) | instskip(NEXT) | instid1(VALU_DEP_2)
	v_add_co_u32 v11, vcc_lo, v20, v11
	v_add_co_ci_u32_e32 v20, vcc_lo, 0, v21, vcc_lo
	s_delay_alu instid0(VALU_DEP_2) | instskip(NEXT) | instid1(VALU_DEP_2)
	v_add_co_u32 v11, vcc_lo, v44, v11
	v_add_co_ci_u32_e32 v20, vcc_lo, v45, v20, vcc_lo
	s_delay_alu instid0(VALU_DEP_2) | instskip(SKIP_1) | instid1(VALU_DEP_3)
	v_mul_hi_u32 v21, s3, v11
	v_mul_lo_u32 v23, s5, v11
	v_mul_lo_u32 v22, s3, v20
	s_delay_alu instid0(VALU_DEP_1) | instskip(SKIP_1) | instid1(VALU_DEP_2)
	v_add_nc_u32_e32 v21, v21, v22
	v_mul_lo_u32 v22, s3, v11
	v_add_nc_u32_e32 v21, v21, v23
	s_delay_alu instid0(VALU_DEP_2) | instskip(NEXT) | instid1(VALU_DEP_2)
	v_mul_hi_u32 v23, v11, v22
	v_mul_lo_u32 v25, v11, v21
	v_mul_hi_u32 v26, v11, v21
	v_mul_hi_u32 v27, v20, v22
	v_mul_lo_u32 v22, v20, v22
	v_mul_hi_u32 v28, v20, v21
	v_mul_lo_u32 v21, v20, v21
	v_add_co_u32 v23, vcc_lo, v23, v25
	v_add_co_ci_u32_e32 v25, vcc_lo, 0, v26, vcc_lo
	s_delay_alu instid0(VALU_DEP_2) | instskip(NEXT) | instid1(VALU_DEP_2)
	v_add_co_u32 v22, vcc_lo, v23, v22
	v_add_co_ci_u32_e32 v22, vcc_lo, v25, v27, vcc_lo
	v_add_co_ci_u32_e32 v23, vcc_lo, 0, v28, vcc_lo
	s_delay_alu instid0(VALU_DEP_2) | instskip(NEXT) | instid1(VALU_DEP_2)
	v_add_co_u32 v21, vcc_lo, v22, v21
	v_add_co_ci_u32_e32 v22, vcc_lo, 0, v23, vcc_lo
	s_delay_alu instid0(VALU_DEP_2) | instskip(NEXT) | instid1(VALU_DEP_2)
	v_add_co_u32 v11, vcc_lo, v11, v21
	v_add_co_ci_u32_e32 v27, vcc_lo, v20, v22, vcc_lo
	s_delay_alu instid0(VALU_DEP_2) | instskip(SKIP_1) | instid1(VALU_DEP_3)
	v_mul_hi_u32 v28, v18, v11
	v_mad_u64_u32 v[22:23], null, v19, v11, 0
	v_mad_u64_u32 v[20:21], null, v18, v27, 0
	;; [unrolled: 1-line block ×3, first 2 shown]
	s_delay_alu instid0(VALU_DEP_2) | instskip(NEXT) | instid1(VALU_DEP_3)
	v_add_co_u32 v11, vcc_lo, v28, v20
	v_add_co_ci_u32_e32 v20, vcc_lo, 0, v21, vcc_lo
	s_delay_alu instid0(VALU_DEP_2) | instskip(NEXT) | instid1(VALU_DEP_2)
	v_add_co_u32 v11, vcc_lo, v11, v22
	v_add_co_ci_u32_e32 v11, vcc_lo, v20, v23, vcc_lo
	v_add_co_ci_u32_e32 v20, vcc_lo, 0, v26, vcc_lo
	s_delay_alu instid0(VALU_DEP_2) | instskip(NEXT) | instid1(VALU_DEP_2)
	v_add_co_u32 v11, vcc_lo, v11, v25
	v_add_co_ci_u32_e32 v22, vcc_lo, 0, v20, vcc_lo
	s_delay_alu instid0(VALU_DEP_2) | instskip(SKIP_1) | instid1(VALU_DEP_3)
	v_mul_lo_u32 v23, s14, v11
	v_mad_u64_u32 v[20:21], null, s59, v11, 0
	v_mul_lo_u32 v25, s59, v22
	s_delay_alu instid0(VALU_DEP_2) | instskip(NEXT) | instid1(VALU_DEP_2)
	v_sub_co_u32 v18, vcc_lo, v18, v20
	v_add3_u32 v21, v21, v25, v23
	s_delay_alu instid0(VALU_DEP_1) | instskip(NEXT) | instid1(VALU_DEP_1)
	v_sub_nc_u32_e32 v23, v19, v21
	v_subrev_co_ci_u32_e64 v20, s3, s14, v23, vcc_lo
	v_add_co_u32 v23, s3, v11, 2
	s_delay_alu instid0(VALU_DEP_1) | instskip(SKIP_3) | instid1(VALU_DEP_3)
	v_add_co_ci_u32_e64 v25, s3, 0, v22, s3
	v_sub_co_u32 v26, s3, v18, s59
	v_sub_co_ci_u32_e32 v19, vcc_lo, v19, v21, vcc_lo
	v_subrev_co_ci_u32_e64 v20, s3, 0, v20, s3
	v_cmp_le_u32_e32 vcc_lo, s59, v26
	s_delay_alu instid0(VALU_DEP_3) | instskip(SKIP_1) | instid1(VALU_DEP_4)
	v_cmp_eq_u32_e64 s3, s14, v19
	v_cndmask_b32_e64 v21, 0, -1, vcc_lo
	v_cmp_le_u32_e32 vcc_lo, s14, v20
	v_cndmask_b32_e64 v26, 0, -1, vcc_lo
	v_cmp_le_u32_e32 vcc_lo, s59, v18
	;; [unrolled: 2-line block ×3, first 2 shown]
	v_cndmask_b32_e64 v27, 0, -1, vcc_lo
	v_cmp_eq_u32_e32 vcc_lo, s14, v20
	s_delay_alu instid0(VALU_DEP_2) | instskip(SKIP_3) | instid1(VALU_DEP_3)
	v_cndmask_b32_e64 v18, v27, v18, s3
	v_cndmask_b32_e32 v20, v26, v21, vcc_lo
	v_add_co_u32 v21, vcc_lo, v11, 1
	v_add_co_ci_u32_e32 v26, vcc_lo, 0, v22, vcc_lo
	v_cmp_ne_u32_e32 vcc_lo, 0, v20
	s_delay_alu instid0(VALU_DEP_2) | instskip(SKIP_1) | instid1(VALU_DEP_2)
	v_dual_cndmask_b32 v19, v26, v25 :: v_dual_cndmask_b32 v20, v21, v23
	v_cmp_ne_u32_e32 vcc_lo, 0, v18
                                        ; implicit-def: $vgpr18
	v_dual_cndmask_b32 v20, v11, v20 :: v_dual_cndmask_b32 v21, v22, v19
.LBB9_11:                               ;   in Loop: Header=BB9_9 Depth=2
	s_and_not1_saveexec_b32 s3, s4
	s_cbranch_execz .LBB9_13
; %bb.12:                               ;   in Loop: Header=BB9_9 Depth=2
	v_cvt_f32_u32_e32 v11, s59
	s_sub_i32 s4, 0, s59
	v_mov_b32_e32 v21, v10
	s_delay_alu instid0(VALU_DEP_2) | instskip(SKIP_2) | instid1(VALU_DEP_1)
	v_rcp_iflag_f32_e32 v11, v11
	s_waitcnt_depctr 0xfff
	v_mul_f32_e32 v11, 0x4f7ffffe, v11
	v_cvt_u32_f32_e32 v11, v11
	s_delay_alu instid0(VALU_DEP_1) | instskip(NEXT) | instid1(VALU_DEP_1)
	v_mul_lo_u32 v19, s4, v11
	v_mul_hi_u32 v19, v11, v19
	s_delay_alu instid0(VALU_DEP_1) | instskip(NEXT) | instid1(VALU_DEP_1)
	v_add_nc_u32_e32 v11, v11, v19
	v_mul_hi_u32 v11, v18, v11
	s_delay_alu instid0(VALU_DEP_1) | instskip(NEXT) | instid1(VALU_DEP_1)
	v_mul_lo_u32 v19, v11, s59
	v_sub_nc_u32_e32 v18, v18, v19
	v_add_nc_u32_e32 v19, 1, v11
	s_delay_alu instid0(VALU_DEP_2) | instskip(SKIP_1) | instid1(VALU_DEP_2)
	v_subrev_nc_u32_e32 v20, s59, v18
	v_cmp_le_u32_e32 vcc_lo, s59, v18
	v_dual_cndmask_b32 v18, v18, v20 :: v_dual_cndmask_b32 v11, v11, v19
	s_delay_alu instid0(VALU_DEP_1) | instskip(NEXT) | instid1(VALU_DEP_2)
	v_cmp_le_u32_e32 vcc_lo, s59, v18
	v_add_nc_u32_e32 v19, 1, v11
	s_delay_alu instid0(VALU_DEP_1)
	v_cndmask_b32_e32 v20, v11, v19, vcc_lo
.LBB9_13:                               ;   in Loop: Header=BB9_9 Depth=2
	s_or_b32 exec_lo, exec_lo, s3
	v_mad_i64_i32 v[22:23], null, s39, v47, 0
	v_ashrrev_i32_e32 v11, 31, v47
	s_mov_b32 s3, 0
	s_delay_alu instid0(VALU_DEP_2) | instskip(NEXT) | instid1(VALU_DEP_3)
	v_add_co_u32 v18, vcc_lo, s41, v22
	v_add_co_ci_u32_e32 v19, vcc_lo, s60, v23, vcc_lo
.LBB9_14:                               ;   Parent Loop BB9_6 Depth=1
                                        ;     Parent Loop BB9_9 Depth=2
                                        ; =>    This Inner Loop Header: Depth=3
	s_delay_alu instid0(VALU_DEP_2) | instskip(NEXT) | instid1(VALU_DEP_2)
	v_add_co_u32 v18, vcc_lo, v18, s57
	v_add_co_ci_u32_e32 v19, vcc_lo, s56, v19, vcc_lo
	s_delay_alu instid0(VALU_DEP_1) | instskip(SKIP_1) | instid1(SALU_CYCLE_1)
	v_cmp_lt_i64_e32 vcc_lo, -1, v[18:19]
	s_or_b32 s3, vcc_lo, s3
	s_and_not1_b32 exec_lo, exec_lo, s3
	s_cbranch_execnz .LBB9_14
; %bb.15:                               ;   in Loop: Header=BB9_9 Depth=2
	s_or_b32 exec_lo, exec_lo, s3
	v_sub_co_u32 v22, vcc_lo, v22, s54
	v_subrev_co_ci_u32_e32 v23, vcc_lo, s50, v23, vcc_lo
	v_add_co_u32 v24, vcc_lo, v24, v20
	v_add_co_ci_u32_e32 v25, vcc_lo, 0, v21, vcc_lo
	s_delay_alu instid0(VALU_DEP_4) | instskip(NEXT) | instid1(VALU_DEP_4)
	v_add_co_u32 v20, vcc_lo, v22, s53
	v_add_co_ci_u32_e32 v21, vcc_lo, s55, v23, vcc_lo
	s_delay_alu instid0(VALU_DEP_4) | instskip(NEXT) | instid1(VALU_DEP_4)
	v_mul_lo_u32 v26, v24, s13
	v_mul_lo_u32 v25, v25, s12
	v_mad_u64_u32 v[22:23], null, v24, s12, v[14:15]
	s_delay_alu instid0(VALU_DEP_4) | instskip(SKIP_1) | instid1(VALU_DEP_2)
	v_cmp_gt_i64_e32 vcc_lo, s[20:21], v[20:21]
	s_mov_b32 s3, -1
	v_add3_u32 v15, v25, v23, v26
	s_delay_alu instid0(VALU_DEP_3)
	v_dual_cndmask_b32 v21, s21, v21 :: v_dual_mov_b32 v14, v22
	v_cndmask_b32_e32 v20, s20, v20, vcc_lo
	s_and_b32 vcc_lo, exec_lo, s58
	s_cbranch_vccnz .LBB9_18
; %bb.16:                               ;   in Loop: Header=BB9_9 Depth=2
	s_and_b32 vcc_lo, exec_lo, s3
	s_cbranch_vccnz .LBB9_64
.LBB9_17:                               ;   in Loop: Header=BB9_9 Depth=2
	s_and_saveexec_b32 s4, s2
	s_cbranch_execz .LBB9_8
	s_branch .LBB9_76
.LBB9_18:                               ;   in Loop: Header=BB9_9 Depth=2
	s_delay_alu instid0(VALU_DEP_2) | instskip(SKIP_3) | instid1(VALU_DEP_4)
	v_ashrrev_i32_e32 v29, 31, v14
	v_mul_lo_u32 v26, v14, s29
	v_mad_u64_u32 v[24:25], null, v14, s28, 0
	v_mov_b32_e32 v28, v14
	v_mul_lo_u32 v27, v29, s28
	v_ashrrev_i32_e32 v23, 31, v18
	v_mov_b32_e32 v22, v18
	s_waitcnt vmcnt(0)
	v_mov_b32_e32 v48, 0
	v_cmp_le_i64_e32 vcc_lo, v[16:17], v[28:29]
	v_mov_b32_e32 v50, 0
	v_mul_lo_u32 v34, v23, s30
	v_cmp_le_i64_e64 s5, v[20:21], v[22:23]
	v_add3_u32 v25, v25, v26, v27
	v_mul_lo_u32 v35, v22, s31
	s_delay_alu instid0(VALU_DEP_3) | instskip(NEXT) | instid1(VALU_DEP_2)
	s_or_b32 s4, vcc_lo, s5
	v_lshlrev_b64 v[24:25], 1, v[24:25]
	s_delay_alu instid0(VALU_DEP_1) | instskip(NEXT) | instid1(VALU_DEP_1)
	v_add_co_u32 v30, s3, v38, v24
	v_add_co_ci_u32_e64 v31, s3, v39, v25, s3
	s_or_b32 s3, s4, s1
	s_delay_alu instid0(SALU_CYCLE_1) | instskip(NEXT) | instid1(SALU_CYCLE_1)
	s_xor_b32 s3, s3, -1
	s_and_saveexec_b32 s4, s3
	s_cbranch_execz .LBB9_20
; %bb.19:                               ;   in Loop: Header=BB9_9 Depth=2
	v_mad_u64_u32 v[24:25], null, v22, s30, 0
	s_delay_alu instid0(VALU_DEP_1) | instskip(NEXT) | instid1(VALU_DEP_1)
	v_add3_u32 v25, v25, v35, v34
	v_lshlrev_b64 v[24:25], 1, v[24:25]
	s_delay_alu instid0(VALU_DEP_1) | instskip(NEXT) | instid1(VALU_DEP_1)
	v_add_co_u32 v24, s3, v30, v24
	v_add_co_ci_u32_e64 v25, s3, v31, v25, s3
	global_load_u16 v50, v[24:25], off
.LBB9_20:                               ;   in Loop: Header=BB9_9 Depth=2
	s_or_b32 exec_lo, exec_lo, s4
	v_add_nc_u32_e32 v24, s43, v18
	s_delay_alu instid0(VALU_DEP_1) | instskip(SKIP_1) | instid1(VALU_DEP_2)
	v_ashrrev_i32_e32 v25, 31, v24
	v_mul_lo_u32 v57, v24, s31
	v_cmp_le_i64_e64 s6, v[20:21], v[24:25]
	v_mul_lo_u32 v55, v25, s30
	s_delay_alu instid0(VALU_DEP_2) | instskip(NEXT) | instid1(SALU_CYCLE_1)
	s_or_b32 s3, vcc_lo, s6
	s_or_b32 s3, s3, s1
	s_delay_alu instid0(SALU_CYCLE_1) | instskip(NEXT) | instid1(SALU_CYCLE_1)
	s_xor_b32 s3, s3, -1
	s_and_saveexec_b32 s4, s3
	s_cbranch_execz .LBB9_22
; %bb.21:                               ;   in Loop: Header=BB9_9 Depth=2
	v_mad_u64_u32 v[26:27], null, v24, s30, 0
	s_delay_alu instid0(VALU_DEP_1) | instskip(NEXT) | instid1(VALU_DEP_1)
	v_add3_u32 v27, v27, v57, v55
	v_lshlrev_b64 v[26:27], 1, v[26:27]
	s_delay_alu instid0(VALU_DEP_1) | instskip(NEXT) | instid1(VALU_DEP_1)
	v_add_co_u32 v26, s3, v30, v26
	v_add_co_ci_u32_e64 v27, s3, v31, v27, s3
	global_load_u16 v48, v[26:27], off
.LBB9_22:                               ;   in Loop: Header=BB9_9 Depth=2
	s_or_b32 exec_lo, exec_lo, s4
	v_dual_mov_b32 v49, 0 :: v_dual_add_nc_u32 v26, s43, v24
	v_mov_b32_e32 v53, 0
	s_delay_alu instid0(VALU_DEP_2) | instskip(SKIP_1) | instid1(VALU_DEP_2)
	v_ashrrev_i32_e32 v27, 31, v26
	v_mul_lo_u32 v58, v26, s31
	v_cmp_le_i64_e64 s7, v[20:21], v[26:27]
	v_mul_lo_u32 v59, v27, s30
	s_delay_alu instid0(VALU_DEP_2) | instskip(NEXT) | instid1(SALU_CYCLE_1)
	s_or_b32 s3, vcc_lo, s7
	s_or_b32 s3, s3, s1
	s_delay_alu instid0(SALU_CYCLE_1) | instskip(NEXT) | instid1(SALU_CYCLE_1)
	s_xor_b32 s3, s3, -1
	s_and_saveexec_b32 s4, s3
	s_cbranch_execz .LBB9_24
; %bb.23:                               ;   in Loop: Header=BB9_9 Depth=2
	v_mad_u64_u32 v[32:33], null, v26, s30, 0
	s_delay_alu instid0(VALU_DEP_1) | instskip(NEXT) | instid1(VALU_DEP_1)
	v_add3_u32 v33, v33, v58, v59
	v_lshlrev_b64 v[32:33], 1, v[32:33]
	s_delay_alu instid0(VALU_DEP_1) | instskip(NEXT) | instid1(VALU_DEP_1)
	v_add_co_u32 v30, s3, v30, v32
	v_add_co_ci_u32_e64 v31, s3, v31, v33, s3
	global_load_u16 v53, v[30:31], off
.LBB9_24:                               ;   in Loop: Header=BB9_9 Depth=2
	s_or_b32 exec_lo, exec_lo, s4
	v_add_nc_u32_e32 v30, s42, v14
	s_delay_alu instid0(VALU_DEP_1) | instskip(SKIP_2) | instid1(VALU_DEP_3)
	v_ashrrev_i32_e32 v31, 31, v30
	v_mul_lo_u32 v51, v30, s29
	v_mad_u64_u32 v[32:33], null, v30, s28, 0
	v_mul_lo_u32 v52, v31, s28
	v_cmp_le_i64_e64 s3, v[16:17], v[30:31]
	s_delay_alu instid0(VALU_DEP_1) | instskip(NEXT) | instid1(VALU_DEP_2)
	s_or_b32 s8, s3, s5
	v_add3_u32 v33, v33, v51, v52
	s_delay_alu instid0(VALU_DEP_1) | instskip(NEXT) | instid1(VALU_DEP_1)
	v_lshlrev_b64 v[32:33], 1, v[32:33]
	v_add_co_u32 v32, s4, v38, v32
	s_delay_alu instid0(VALU_DEP_1) | instskip(SKIP_1) | instid1(SALU_CYCLE_1)
	v_add_co_ci_u32_e64 v33, s4, v39, v33, s4
	s_or_b32 s4, s8, s1
	s_xor_b32 s4, s4, -1
	s_delay_alu instid0(SALU_CYCLE_1)
	s_and_saveexec_b32 s8, s4
	s_cbranch_execz .LBB9_26
; %bb.25:                               ;   in Loop: Header=BB9_9 Depth=2
	v_mad_u64_u32 v[51:52], null, v22, s30, 0
	s_delay_alu instid0(VALU_DEP_1) | instskip(NEXT) | instid1(VALU_DEP_1)
	v_add3_u32 v52, v52, v35, v34
	v_lshlrev_b64 v[51:52], 1, v[51:52]
	s_delay_alu instid0(VALU_DEP_1) | instskip(NEXT) | instid1(VALU_DEP_1)
	v_add_co_u32 v51, s4, v32, v51
	v_add_co_ci_u32_e64 v52, s4, v33, v52, s4
	global_load_u16 v49, v[51:52], off
.LBB9_26:                               ;   in Loop: Header=BB9_9 Depth=2
	s_or_b32 exec_lo, exec_lo, s8
	s_or_b32 s4, s3, s6
	v_dual_mov_b32 v51, 0 :: v_dual_mov_b32 v54, 0
	s_or_b32 s4, s4, s1
	s_delay_alu instid0(SALU_CYCLE_1) | instskip(NEXT) | instid1(SALU_CYCLE_1)
	s_xor_b32 s4, s4, -1
	s_and_saveexec_b32 s8, s4
	s_cbranch_execz .LBB9_28
; %bb.27:                               ;   in Loop: Header=BB9_9 Depth=2
	v_mad_u64_u32 v[60:61], null, v24, s30, 0
	s_delay_alu instid0(VALU_DEP_1) | instskip(NEXT) | instid1(VALU_DEP_1)
	v_add3_u32 v61, v61, v57, v55
	v_lshlrev_b64 v[60:61], 1, v[60:61]
	s_delay_alu instid0(VALU_DEP_1) | instskip(NEXT) | instid1(VALU_DEP_1)
	v_add_co_u32 v60, s4, v32, v60
	v_add_co_ci_u32_e64 v61, s4, v33, v61, s4
	global_load_u16 v54, v[60:61], off
.LBB9_28:                               ;   in Loop: Header=BB9_9 Depth=2
	s_or_b32 exec_lo, exec_lo, s8
	s_or_b32 s4, s3, s7
	s_delay_alu instid0(SALU_CYCLE_1) | instskip(NEXT) | instid1(SALU_CYCLE_1)
	s_or_b32 s4, s4, s1
	s_xor_b32 s4, s4, -1
	s_delay_alu instid0(SALU_CYCLE_1)
	s_and_saveexec_b32 s8, s4
	s_cbranch_execz .LBB9_30
; %bb.29:                               ;   in Loop: Header=BB9_9 Depth=2
	v_mad_u64_u32 v[51:52], null, v26, s30, 0
	s_delay_alu instid0(VALU_DEP_1) | instskip(NEXT) | instid1(VALU_DEP_1)
	v_add3_u32 v52, v52, v58, v59
	v_lshlrev_b64 v[51:52], 1, v[51:52]
	s_delay_alu instid0(VALU_DEP_1) | instskip(NEXT) | instid1(VALU_DEP_1)
	v_add_co_u32 v32, s4, v32, v51
	v_add_co_ci_u32_e64 v33, s4, v33, v52, s4
	global_load_u16 v51, v[32:33], off
.LBB9_30:                               ;   in Loop: Header=BB9_9 Depth=2
	s_or_b32 exec_lo, exec_lo, s8
	v_add_nc_u32_e32 v32, s42, v30
	s_delay_alu instid0(VALU_DEP_1) | instskip(SKIP_2) | instid1(VALU_DEP_3)
	v_ashrrev_i32_e32 v33, 31, v32
	v_mul_lo_u32 v52, v32, s29
	v_mad_u64_u32 v[60:61], null, v32, s28, 0
	v_mul_lo_u32 v56, v33, s28
	v_cmp_le_i64_e64 s4, v[16:17], v[32:33]
	s_delay_alu instid0(VALU_DEP_1) | instskip(NEXT) | instid1(VALU_DEP_2)
	s_or_b32 s64, s4, s5
	v_add3_u32 v61, v61, v52, v56
	v_mov_b32_e32 v52, 0
	v_mov_b32_e32 v56, 0
	s_delay_alu instid0(VALU_DEP_3) | instskip(NEXT) | instid1(VALU_DEP_1)
	v_lshlrev_b64 v[60:61], 1, v[60:61]
	v_add_co_u32 v60, s8, v38, v60
	s_delay_alu instid0(VALU_DEP_1) | instskip(SKIP_1) | instid1(SALU_CYCLE_1)
	v_add_co_ci_u32_e64 v61, s8, v39, v61, s8
	s_or_b32 s8, s64, s1
	s_xor_b32 s8, s8, -1
	s_delay_alu instid0(SALU_CYCLE_1)
	s_and_saveexec_b32 s64, s8
	s_cbranch_execz .LBB9_32
; %bb.31:                               ;   in Loop: Header=BB9_9 Depth=2
	v_mad_u64_u32 v[62:63], null, v22, s30, 0
	s_delay_alu instid0(VALU_DEP_1) | instskip(NEXT) | instid1(VALU_DEP_1)
	v_add3_u32 v63, v63, v35, v34
	v_lshlrev_b64 v[34:35], 1, v[62:63]
	s_delay_alu instid0(VALU_DEP_1) | instskip(NEXT) | instid1(VALU_DEP_1)
	v_add_co_u32 v34, s8, v60, v34
	v_add_co_ci_u32_e64 v35, s8, v61, v35, s8
	global_load_u16 v56, v[34:35], off
.LBB9_32:                               ;   in Loop: Header=BB9_9 Depth=2
	s_or_b32 exec_lo, exec_lo, s64
	s_or_b32 s8, s4, s6
	s_delay_alu instid0(SALU_CYCLE_1) | instskip(NEXT) | instid1(SALU_CYCLE_1)
	s_or_b32 s8, s8, s1
	s_xor_b32 s8, s8, -1
	s_delay_alu instid0(SALU_CYCLE_1)
	s_and_saveexec_b32 s64, s8
	s_cbranch_execz .LBB9_34
; %bb.33:                               ;   in Loop: Header=BB9_9 Depth=2
	v_mad_u64_u32 v[34:35], null, v24, s30, 0
	s_delay_alu instid0(VALU_DEP_1) | instskip(NEXT) | instid1(VALU_DEP_1)
	v_add3_u32 v35, v35, v57, v55
	v_lshlrev_b64 v[34:35], 1, v[34:35]
	s_delay_alu instid0(VALU_DEP_1) | instskip(NEXT) | instid1(VALU_DEP_1)
	v_add_co_u32 v34, s8, v60, v34
	v_add_co_ci_u32_e64 v35, s8, v61, v35, s8
	global_load_u16 v52, v[34:35], off
.LBB9_34:                               ;   in Loop: Header=BB9_9 Depth=2
	s_or_b32 exec_lo, exec_lo, s64
	s_or_b32 s8, s4, s7
	v_mov_b32_e32 v55, 0
	s_or_b32 s8, s8, s1
	s_delay_alu instid0(SALU_CYCLE_1) | instskip(NEXT) | instid1(SALU_CYCLE_1)
	s_xor_b32 s8, s8, -1
	s_and_saveexec_b32 s64, s8
	s_cbranch_execz .LBB9_36
; %bb.35:                               ;   in Loop: Header=BB9_9 Depth=2
	v_mad_u64_u32 v[34:35], null, v26, s30, 0
	s_delay_alu instid0(VALU_DEP_1) | instskip(NEXT) | instid1(VALU_DEP_1)
	v_add3_u32 v35, v35, v58, v59
	v_lshlrev_b64 v[34:35], 1, v[34:35]
	s_delay_alu instid0(VALU_DEP_1) | instskip(NEXT) | instid1(VALU_DEP_1)
	v_add_co_u32 v34, s8, v60, v34
	v_add_co_ci_u32_e64 v35, s8, v61, v35, s8
	global_load_u16 v55, v[34:35], off
.LBB9_36:                               ;   in Loop: Header=BB9_9 Depth=2
	s_or_b32 exec_lo, exec_lo, s64
	v_mul_lo_u32 v29, v29, s20
	v_mul_lo_u32 v57, v28, s21
	v_mad_u64_u32 v[34:35], null, v28, s20, 0
	s_or_b32 s64, s1, s5
	s_delay_alu instid0(SALU_CYCLE_1) | instskip(NEXT) | instid1(SALU_CYCLE_1)
	s_or_b32 s5, vcc_lo, s64
	s_xor_b32 s5, s5, -1
	s_delay_alu instid0(VALU_DEP_1)
	v_add3_u32 v28, v35, v57, v29
	s_and_saveexec_b32 s65, s5
	s_cbranch_execz .LBB9_39
; %bb.37:                               ;   in Loop: Header=BB9_9 Depth=2
	ds_load_u16 v29, v40
	s_waitcnt vmcnt(0)
	v_cmp_u_f16_e64 s8, v50, v50
	s_waitcnt lgkmcnt(0)
	v_cmp_lt_f16_e64 s5, v29, v50
	s_delay_alu instid0(VALU_DEP_1) | instskip(NEXT) | instid1(SALU_CYCLE_1)
	s_or_b32 s5, s5, s8
	s_and_b32 exec_lo, exec_lo, s5
	s_cbranch_execz .LBB9_39
; %bb.38:                               ;   in Loop: Header=BB9_9 Depth=2
	v_add_co_u32 v57, s5, v34, v22
	s_delay_alu instid0(VALU_DEP_1)
	v_add_co_ci_u32_e64 v58, s5, v28, v23, s5
	ds_store_b16 v40, v50
	ds_store_b64 v41, v[57:58]
.LBB9_39:                               ;   in Loop: Header=BB9_9 Depth=2
	s_or_b32 exec_lo, exec_lo, s65
	s_or_b32 s8, s1, s6
	s_delay_alu instid0(SALU_CYCLE_1) | instskip(NEXT) | instid1(SALU_CYCLE_1)
	s_or_b32 s5, vcc_lo, s8
	s_xor_b32 s5, s5, -1
	s_delay_alu instid0(SALU_CYCLE_1)
	s_and_saveexec_b32 s65, s5
	s_cbranch_execz .LBB9_42
; %bb.40:                               ;   in Loop: Header=BB9_9 Depth=2
	ds_load_u16 v29, v40
	s_waitcnt vmcnt(0)
	v_cmp_u_f16_e64 s6, v48, v48
	s_waitcnt lgkmcnt(0)
	v_cmp_lt_f16_e64 s5, v29, v48
	s_delay_alu instid0(VALU_DEP_1) | instskip(NEXT) | instid1(SALU_CYCLE_1)
	s_or_b32 s5, s5, s6
	s_and_b32 exec_lo, exec_lo, s5
	s_cbranch_execz .LBB9_42
; %bb.41:                               ;   in Loop: Header=BB9_9 Depth=2
	v_add_co_u32 v57, s5, v34, v24
	s_delay_alu instid0(VALU_DEP_1)
	v_add_co_ci_u32_e64 v58, s5, v28, v25, s5
	ds_store_b16 v40, v48
	ds_store_b64 v41, v[57:58]
.LBB9_42:                               ;   in Loop: Header=BB9_9 Depth=2
	s_or_b32 exec_lo, exec_lo, s65
	s_or_b32 s6, s1, s7
	s_delay_alu instid0(SALU_CYCLE_1) | instskip(NEXT) | instid1(SALU_CYCLE_1)
	s_or_b32 s5, vcc_lo, s6
	s_xor_b32 s5, s5, -1
	s_delay_alu instid0(SALU_CYCLE_1)
	s_and_saveexec_b32 s7, s5
	s_cbranch_execz .LBB9_45
; %bb.43:                               ;   in Loop: Header=BB9_9 Depth=2
	ds_load_u16 v29, v40
	s_waitcnt vmcnt(0)
	v_cmp_u_f16_e64 s5, v53, v53
	s_waitcnt lgkmcnt(0)
	v_cmp_lt_f16_e32 vcc_lo, v29, v53
	s_delay_alu instid0(VALU_DEP_2) | instskip(NEXT) | instid1(SALU_CYCLE_1)
	s_or_b32 s5, vcc_lo, s5
	s_and_b32 exec_lo, exec_lo, s5
	s_cbranch_execz .LBB9_45
; %bb.44:                               ;   in Loop: Header=BB9_9 Depth=2
	v_add_co_u32 v34, vcc_lo, v34, v26
	v_add_co_ci_u32_e32 v35, vcc_lo, v28, v27, vcc_lo
	ds_store_b16 v40, v53
	ds_store_b64 v41, v[34:35]
.LBB9_45:                               ;   in Loop: Header=BB9_9 Depth=2
	s_or_b32 exec_lo, exec_lo, s7
	v_mul_lo_u32 v31, v31, s20
	v_mul_lo_u32 v34, v30, s21
	v_mad_u64_u32 v[28:29], null, v30, s20, 0
	s_or_b32 s5, s3, s64
	s_delay_alu instid0(SALU_CYCLE_1) | instskip(NEXT) | instid1(VALU_DEP_1)
	s_xor_b32 s5, s5, -1
	v_add3_u32 v29, v29, v34, v31
	s_and_saveexec_b32 s7, s5
	s_cbranch_execz .LBB9_48
; %bb.46:                               ;   in Loop: Header=BB9_9 Depth=2
	ds_load_u16 v30, v40
	s_waitcnt vmcnt(0)
	v_cmp_u_f16_e64 s5, v49, v49
	s_waitcnt lgkmcnt(0)
	v_cmp_lt_f16_e32 vcc_lo, v30, v49
	s_delay_alu instid0(VALU_DEP_2) | instskip(NEXT) | instid1(SALU_CYCLE_1)
	s_or_b32 s5, vcc_lo, s5
	s_and_b32 exec_lo, exec_lo, s5
	s_cbranch_execz .LBB9_48
; %bb.47:                               ;   in Loop: Header=BB9_9 Depth=2
	v_add_co_u32 v30, vcc_lo, v28, v22
	v_add_co_ci_u32_e32 v31, vcc_lo, v29, v23, vcc_lo
	ds_store_b16 v40, v49
	ds_store_b64 v41, v[30:31]
.LBB9_48:                               ;   in Loop: Header=BB9_9 Depth=2
	s_or_b32 exec_lo, exec_lo, s7
	s_or_b32 s5, s3, s8
	s_delay_alu instid0(SALU_CYCLE_1) | instskip(NEXT) | instid1(SALU_CYCLE_1)
	s_xor_b32 s5, s5, -1
	s_and_saveexec_b32 s7, s5
	s_cbranch_execz .LBB9_51
; %bb.49:                               ;   in Loop: Header=BB9_9 Depth=2
	ds_load_u16 v30, v40
	s_waitcnt vmcnt(0)
	v_cmp_u_f16_e64 s5, v54, v54
	s_waitcnt lgkmcnt(0)
	v_cmp_lt_f16_e32 vcc_lo, v30, v54
	s_delay_alu instid0(VALU_DEP_2) | instskip(NEXT) | instid1(SALU_CYCLE_1)
	s_or_b32 s5, vcc_lo, s5
	s_and_b32 exec_lo, exec_lo, s5
	s_cbranch_execz .LBB9_51
; %bb.50:                               ;   in Loop: Header=BB9_9 Depth=2
	v_add_co_u32 v30, vcc_lo, v28, v24
	v_add_co_ci_u32_e32 v31, vcc_lo, v29, v25, vcc_lo
	ds_store_b16 v40, v54
	ds_store_b64 v41, v[30:31]
.LBB9_51:                               ;   in Loop: Header=BB9_9 Depth=2
	s_or_b32 exec_lo, exec_lo, s7
	s_or_b32 s3, s3, s6
	s_delay_alu instid0(SALU_CYCLE_1) | instskip(NEXT) | instid1(SALU_CYCLE_1)
	s_xor_b32 s3, s3, -1
	s_and_saveexec_b32 s5, s3
	s_cbranch_execz .LBB9_54
; %bb.52:                               ;   in Loop: Header=BB9_9 Depth=2
	ds_load_u16 v30, v40
	s_waitcnt vmcnt(0)
	v_cmp_u_f16_e64 s3, v51, v51
	s_waitcnt lgkmcnt(0)
	v_cmp_lt_f16_e32 vcc_lo, v30, v51
	s_delay_alu instid0(VALU_DEP_2) | instskip(NEXT) | instid1(SALU_CYCLE_1)
	s_or_b32 s3, vcc_lo, s3
	s_and_b32 exec_lo, exec_lo, s3
	s_cbranch_execz .LBB9_54
; %bb.53:                               ;   in Loop: Header=BB9_9 Depth=2
	v_add_co_u32 v28, vcc_lo, v28, v26
	v_add_co_ci_u32_e32 v29, vcc_lo, v29, v27, vcc_lo
	ds_store_b16 v40, v51
	ds_store_b64 v41, v[28:29]
.LBB9_54:                               ;   in Loop: Header=BB9_9 Depth=2
	s_or_b32 exec_lo, exec_lo, s5
	v_mul_lo_u32 v30, v33, s20
	v_mul_lo_u32 v31, v32, s21
	v_mad_u64_u32 v[28:29], null, v32, s20, 0
	s_or_b32 s3, s4, s64
	s_delay_alu instid0(SALU_CYCLE_1) | instskip(NEXT) | instid1(VALU_DEP_1)
	s_xor_b32 s3, s3, -1
	v_add3_u32 v29, v29, v31, v30
	s_and_saveexec_b32 s5, s3
	s_cbranch_execz .LBB9_57
; %bb.55:                               ;   in Loop: Header=BB9_9 Depth=2
	ds_load_u16 v30, v40
	s_waitcnt vmcnt(0)
	v_cmp_u_f16_e64 s3, v56, v56
	s_waitcnt lgkmcnt(0)
	v_cmp_lt_f16_e32 vcc_lo, v30, v56
	s_delay_alu instid0(VALU_DEP_2) | instskip(NEXT) | instid1(SALU_CYCLE_1)
	s_or_b32 s3, vcc_lo, s3
	s_and_b32 exec_lo, exec_lo, s3
	s_cbranch_execz .LBB9_57
; %bb.56:                               ;   in Loop: Header=BB9_9 Depth=2
	v_add_co_u32 v22, vcc_lo, v28, v22
	v_add_co_ci_u32_e32 v23, vcc_lo, v29, v23, vcc_lo
	ds_store_b16 v40, v56
	ds_store_b64 v41, v[22:23]
.LBB9_57:                               ;   in Loop: Header=BB9_9 Depth=2
	s_or_b32 exec_lo, exec_lo, s5
	s_or_b32 s3, s4, s8
	s_delay_alu instid0(SALU_CYCLE_1) | instskip(NEXT) | instid1(SALU_CYCLE_1)
	s_xor_b32 s3, s3, -1
	s_and_saveexec_b32 s5, s3
	s_cbranch_execz .LBB9_60
; %bb.58:                               ;   in Loop: Header=BB9_9 Depth=2
	ds_load_u16 v22, v40
	s_waitcnt vmcnt(0)
	v_cmp_u_f16_e64 s3, v52, v52
	s_waitcnt lgkmcnt(0)
	v_cmp_lt_f16_e32 vcc_lo, v22, v52
	s_delay_alu instid0(VALU_DEP_2) | instskip(NEXT) | instid1(SALU_CYCLE_1)
	s_or_b32 s3, vcc_lo, s3
	s_and_b32 exec_lo, exec_lo, s3
	s_cbranch_execz .LBB9_60
; %bb.59:                               ;   in Loop: Header=BB9_9 Depth=2
	v_add_co_u32 v22, vcc_lo, v28, v24
	v_add_co_ci_u32_e32 v23, vcc_lo, v29, v25, vcc_lo
	ds_store_b16 v40, v52
	ds_store_b64 v41, v[22:23]
.LBB9_60:                               ;   in Loop: Header=BB9_9 Depth=2
	s_or_b32 exec_lo, exec_lo, s5
	s_or_b32 s3, s4, s6
	s_delay_alu instid0(SALU_CYCLE_1) | instskip(NEXT) | instid1(SALU_CYCLE_1)
	s_xor_b32 s3, s3, -1
	s_and_saveexec_b32 s4, s3
	s_cbranch_execz .LBB9_63
; %bb.61:                               ;   in Loop: Header=BB9_9 Depth=2
	ds_load_u16 v22, v40
	s_waitcnt vmcnt(0)
	v_cmp_u_f16_e64 s3, v55, v55
	s_waitcnt lgkmcnt(0)
	v_cmp_lt_f16_e32 vcc_lo, v22, v55
	s_delay_alu instid0(VALU_DEP_2) | instskip(NEXT) | instid1(SALU_CYCLE_1)
	s_or_b32 s3, vcc_lo, s3
	s_and_b32 exec_lo, exec_lo, s3
	s_cbranch_execz .LBB9_63
; %bb.62:                               ;   in Loop: Header=BB9_9 Depth=2
	v_add_co_u32 v22, vcc_lo, v28, v26
	v_add_co_ci_u32_e32 v23, vcc_lo, v29, v27, vcc_lo
	ds_store_b16 v40, v55
	ds_store_b64 v41, v[22:23]
.LBB9_63:                               ;   in Loop: Header=BB9_9 Depth=2
	s_or_b32 exec_lo, exec_lo, s4
	s_branch .LBB9_17
.LBB9_64:                               ;   in Loop: Header=BB9_9 Depth=2
	s_mov_b32 s5, exec_lo
	v_cmpx_lt_i64_e64 v[14:15], v[16:17]
	s_cbranch_execz .LBB9_75
; %bb.65:                               ;   in Loop: Header=BB9_9 Depth=2
	v_cmp_lt_i64_e32 vcc_lo, v[18:19], v[20:21]
	v_dual_mov_b32 v23, v15 :: v_dual_mov_b32 v22, v14
	s_mov_b32 s6, 0
	s_branch .LBB9_67
.LBB9_66:                               ;   in Loop: Header=BB9_67 Depth=3
	s_or_b32 exec_lo, exec_lo, s7
	v_add_co_u32 v22, s3, v22, s12
	s_delay_alu instid0(VALU_DEP_1) | instskip(NEXT) | instid1(VALU_DEP_1)
	v_add_co_ci_u32_e64 v23, s3, s13, v23, s3
	v_cmp_ge_i64_e64 s3, v[22:23], v[16:17]
	s_delay_alu instid0(VALU_DEP_1) | instskip(NEXT) | instid1(SALU_CYCLE_1)
	s_or_b32 s6, s3, s6
	s_and_not1_b32 exec_lo, exec_lo, s6
	s_cbranch_execz .LBB9_75
.LBB9_67:                               ;   Parent Loop BB9_6 Depth=1
                                        ;     Parent Loop BB9_9 Depth=2
                                        ; =>    This Loop Header: Depth=3
                                        ;         Child Loop BB9_70 Depth 4
                                        ;           Child Loop BB9_73 Depth 5
	s_and_saveexec_b32 s7, vcc_lo
	s_cbranch_execz .LBB9_66
; %bb.68:                               ;   in Loop: Header=BB9_67 Depth=3
	v_mul_lo_u32 v24, v23, s28
	v_mul_lo_u32 v25, v22, s29
	v_mad_u64_u32 v[26:27], null, v22, s28, 0
	v_mul_lo_u32 v28, v23, s20
	v_mul_lo_u32 v29, v22, s21
	s_mov_b32 s8, 0
	s_delay_alu instid0(VALU_DEP_3) | instskip(SKIP_1) | instid1(VALU_DEP_2)
	v_add3_u32 v27, v27, v25, v24
	v_mad_u64_u32 v[24:25], null, v22, s20, 0
	v_lshlrev_b64 v[26:27], 1, v[26:27]
	s_delay_alu instid0(VALU_DEP_2) | instskip(NEXT) | instid1(VALU_DEP_2)
	v_add3_u32 v25, v25, v29, v28
	v_add_co_u32 v34, s3, s47, v26
	s_delay_alu instid0(VALU_DEP_1)
	v_add_co_ci_u32_e64 v35, s3, s48, v27, s3
	v_dual_mov_b32 v27, v19 :: v_dual_mov_b32 v26, v18
	s_branch .LBB9_70
.LBB9_69:                               ;   in Loop: Header=BB9_70 Depth=4
	s_set_inst_prefetch_distance 0x2
	s_or_b32 exec_lo, exec_lo, s64
	v_add_co_u32 v26, s3, v26, s57
	s_delay_alu instid0(VALU_DEP_1) | instskip(NEXT) | instid1(VALU_DEP_1)
	v_add_co_ci_u32_e64 v27, s3, s56, v27, s3
	v_cmp_ge_i64_e64 s3, v[26:27], v[20:21]
	s_delay_alu instid0(VALU_DEP_1) | instskip(NEXT) | instid1(SALU_CYCLE_1)
	s_or_b32 s8, s3, s8
	s_and_not1_b32 exec_lo, exec_lo, s8
	s_cbranch_execz .LBB9_66
.LBB9_70:                               ;   Parent Loop BB9_6 Depth=1
                                        ;     Parent Loop BB9_9 Depth=2
                                        ;       Parent Loop BB9_67 Depth=3
                                        ; =>      This Loop Header: Depth=4
                                        ;           Child Loop BB9_73 Depth 5
	s_and_saveexec_b32 s64, s2
	s_cbranch_execz .LBB9_69
; %bb.71:                               ;   in Loop: Header=BB9_70 Depth=4
	s_delay_alu instid0(VALU_DEP_1)
	v_mul_lo_u32 v30, v27, s30
	v_mul_lo_u32 v31, v26, s31
	v_mad_u64_u32 v[28:29], null, v26, s30, 0
	s_waitcnt vmcnt(0)
	v_dual_mov_b32 v48, v43 :: v_dual_mov_b32 v49, v42
	s_mov_b32 s65, 0
	s_delay_alu instid0(VALU_DEP_2) | instskip(SKIP_1) | instid1(VALU_DEP_2)
	v_add3_u32 v29, v29, v31, v30
	v_dual_mov_b32 v31, v5 :: v_dual_mov_b32 v30, v4
	v_lshlrev_b64 v[32:33], 1, v[28:29]
	v_add_co_u32 v28, s3, v26, v24
	s_delay_alu instid0(VALU_DEP_1) | instskip(NEXT) | instid1(VALU_DEP_3)
	v_add_co_ci_u32_e64 v29, s3, v27, v25, s3
	v_add_co_u32 v50, s3, v34, v32
	s_delay_alu instid0(VALU_DEP_1)
	v_add_co_ci_u32_e64 v51, s3, v35, v33, s3
	v_dual_mov_b32 v33, v2 :: v_dual_mov_b32 v32, v1
	s_set_inst_prefetch_distance 0x1
	s_branch .LBB9_73
	.p2align	6
.LBB9_72:                               ;   in Loop: Header=BB9_73 Depth=5
	s_or_b32 exec_lo, exec_lo, s3
	v_add_co_u32 v32, s3, v32, s24
	s_delay_alu instid0(VALU_DEP_1) | instskip(SKIP_1) | instid1(VALU_DEP_1)
	v_add_co_ci_u32_e64 v33, s3, s25, v33, s3
	v_add_co_u32 v30, s4, v30, s45
	v_add_co_ci_u32_e64 v31, s4, s44, v31, s4
	s_delay_alu instid0(VALU_DEP_3) | instskip(SKIP_2) | instid1(VALU_DEP_3)
	v_cmp_le_i64_e64 s3, s[16:17], v[32:33]
	v_add_nc_u32_e32 v49, s61, v49
	v_add_nc_u32_e32 v48, s62, v48
	s_or_b32 s65, s3, s65
	s_delay_alu instid0(SALU_CYCLE_1)
	s_and_not1_b32 exec_lo, exec_lo, s65
	s_cbranch_execz .LBB9_69
.LBB9_73:                               ;   Parent Loop BB9_6 Depth=1
                                        ;     Parent Loop BB9_9 Depth=2
                                        ;       Parent Loop BB9_67 Depth=3
                                        ;         Parent Loop BB9_70 Depth=4
                                        ; =>        This Inner Loop Header: Depth=5
	v_lshlrev_b64 v[52:53], 1, v[30:31]
	s_delay_alu instid0(VALU_DEP_1) | instskip(NEXT) | instid1(VALU_DEP_1)
	v_add_co_u32 v52, s3, v50, v52
	v_add_co_ci_u32_e64 v53, s3, v51, v53, s3
	global_load_u16 v52, v[52:53], off
	ds_load_u16 v53, v49
	s_waitcnt vmcnt(0) lgkmcnt(0)
	v_cmp_lt_f16_e64 s3, v53, v52
	v_cmp_u_f16_e64 s4, v52, v52
	s_delay_alu instid0(VALU_DEP_1) | instskip(NEXT) | instid1(SALU_CYCLE_1)
	s_or_b32 s4, s3, s4
	s_and_saveexec_b32 s3, s4
	s_cbranch_execz .LBB9_72
; %bb.74:                               ;   in Loop: Header=BB9_73 Depth=5
	ds_store_b16 v49, v52
	ds_store_b64 v48, v[28:29]
	s_branch .LBB9_72
.LBB9_75:                               ;   in Loop: Header=BB9_9 Depth=2
	s_or_b32 exec_lo, exec_lo, s5
	s_and_saveexec_b32 s4, s2
	s_cbranch_execz .LBB9_8
.LBB9_76:                               ;   in Loop: Header=BB9_9 Depth=2
	v_add_co_u32 v18, vcc_lo, v12, v47
	v_add_co_ci_u32_e32 v19, vcc_lo, v13, v11, vcc_lo
	v_mov_b32_e32 v24, v43
	s_mov_b32 s5, 0
	s_delay_alu instid0(VALU_DEP_2) | instskip(SKIP_1) | instid1(VALU_DEP_2)
	v_lshlrev_b64 v[20:21], 3, v[18:19]
	v_lshlrev_b64 v[18:19], 1, v[18:19]
	v_add_co_u32 v11, vcc_lo, s10, v20
	s_delay_alu instid0(VALU_DEP_3) | instskip(NEXT) | instid1(VALU_DEP_3)
	v_add_co_ci_u32_e32 v20, vcc_lo, s11, v21, vcc_lo
	v_add_co_u32 v22, vcc_lo, s26, v18
	s_delay_alu instid0(VALU_DEP_4) | instskip(NEXT) | instid1(VALU_DEP_3)
	v_add_co_ci_u32_e32 v21, vcc_lo, s27, v19, vcc_lo
	v_mul_lo_u32 v23, s16, v20
	v_mul_lo_u32 v25, s17, v11
	v_mad_u64_u32 v[18:19], null, s16, v11, v[6:7]
	s_delay_alu instid0(VALU_DEP_4) | instskip(SKIP_2) | instid1(VALU_DEP_4)
	v_mul_lo_u32 v11, s16, v21
	v_mul_lo_u32 v26, s17, v22
	v_mad_u64_u32 v[20:21], null, s16, v22, v[8:9]
	v_add3_u32 v19, v25, v19, v23
	v_mov_b32_e32 v25, v42
	v_dual_mov_b32 v23, v2 :: v_dual_mov_b32 v22, v1
	s_delay_alu instid0(VALU_DEP_4)
	v_add3_u32 v21, v26, v21, v11
	.p2align	6
.LBB9_77:                               ;   Parent Loop BB9_6 Depth=1
                                        ;     Parent Loop BB9_9 Depth=2
                                        ; =>    This Inner Loop Header: Depth=3
	ds_load_u16 v28, v25
	ds_load_b64 v[26:27], v24
	v_mov_b32_e32 v11, v10
	v_add_co_u32 v22, vcc_lo, v22, s24
	v_add_co_ci_u32_e32 v23, vcc_lo, s25, v23, vcc_lo
	ds_store_b16 v25, v46
	ds_store_b64 v24, v[10:11]
	v_add_nc_u32_e32 v24, s62, v24
	v_cmp_le_i64_e32 vcc_lo, s[16:17], v[22:23]
	v_add_nc_u32_e32 v25, s61, v25
	s_waitcnt lgkmcnt(3)
	global_store_b16 v[20:21], v28, off
	s_waitcnt lgkmcnt(2)
	global_store_b64 v[18:19], v[26:27], off
	v_add_co_u32 v18, s3, v18, s22
	s_delay_alu instid0(VALU_DEP_1) | instskip(SKIP_1) | instid1(VALU_DEP_1)
	v_add_co_ci_u32_e64 v19, s3, s23, v19, s3
	v_add_co_u32 v20, s3, v20, s36
	v_add_co_ci_u32_e64 v21, s3, s37, v21, s3
	s_or_b32 s5, vcc_lo, s5
	s_delay_alu instid0(SALU_CYCLE_1)
	s_and_not1_b32 exec_lo, exec_lo, s5
	s_cbranch_execnz .LBB9_77
	s_branch .LBB9_8
.LBB9_78:
	s_nop 0
	s_sendmsg sendmsg(MSG_DEALLOC_VGPRS)
	s_endpgm
	.section	.rodata,"a",@progbits
	.p2align	6, 0x0
	.amdhsa_kernel _ZN2at6native12_GLOBAL__N_121max_pool_forward_nhwcIN3c104HalfElEEvPKT_iT0_S8_S8_S8_S8_iiiiiiiiS8_S8_S8_S8_iiPS5_Pl
		.amdhsa_group_segment_fixed_size 0
		.amdhsa_private_segment_fixed_size 0
		.amdhsa_kernarg_size 400
		.amdhsa_user_sgpr_count 13
		.amdhsa_user_sgpr_dispatch_ptr 0
		.amdhsa_user_sgpr_queue_ptr 0
		.amdhsa_user_sgpr_kernarg_segment_ptr 1
		.amdhsa_user_sgpr_dispatch_id 0
		.amdhsa_user_sgpr_private_segment_size 0
		.amdhsa_wavefront_size32 1
		.amdhsa_uses_dynamic_stack 0
		.amdhsa_enable_private_segment 0
		.amdhsa_system_sgpr_workgroup_id_x 1
		.amdhsa_system_sgpr_workgroup_id_y 1
		.amdhsa_system_sgpr_workgroup_id_z 1
		.amdhsa_system_sgpr_workgroup_info 0
		.amdhsa_system_vgpr_workitem_id 2
		.amdhsa_next_free_vgpr 64
		.amdhsa_next_free_sgpr 66
		.amdhsa_reserve_vcc 1
		.amdhsa_float_round_mode_32 0
		.amdhsa_float_round_mode_16_64 0
		.amdhsa_float_denorm_mode_32 3
		.amdhsa_float_denorm_mode_16_64 3
		.amdhsa_dx10_clamp 1
		.amdhsa_ieee_mode 1
		.amdhsa_fp16_overflow 0
		.amdhsa_workgroup_processor_mode 1
		.amdhsa_memory_ordered 1
		.amdhsa_forward_progress 0
		.amdhsa_shared_vgpr_count 0
		.amdhsa_exception_fp_ieee_invalid_op 0
		.amdhsa_exception_fp_denorm_src 0
		.amdhsa_exception_fp_ieee_div_zero 0
		.amdhsa_exception_fp_ieee_overflow 0
		.amdhsa_exception_fp_ieee_underflow 0
		.amdhsa_exception_fp_ieee_inexact 0
		.amdhsa_exception_int_div_zero 0
	.end_amdhsa_kernel
	.section	.text._ZN2at6native12_GLOBAL__N_121max_pool_forward_nhwcIN3c104HalfElEEvPKT_iT0_S8_S8_S8_S8_iiiiiiiiS8_S8_S8_S8_iiPS5_Pl,"axG",@progbits,_ZN2at6native12_GLOBAL__N_121max_pool_forward_nhwcIN3c104HalfElEEvPKT_iT0_S8_S8_S8_S8_iiiiiiiiS8_S8_S8_S8_iiPS5_Pl,comdat
.Lfunc_end9:
	.size	_ZN2at6native12_GLOBAL__N_121max_pool_forward_nhwcIN3c104HalfElEEvPKT_iT0_S8_S8_S8_S8_iiiiiiiiS8_S8_S8_S8_iiPS5_Pl, .Lfunc_end9-_ZN2at6native12_GLOBAL__N_121max_pool_forward_nhwcIN3c104HalfElEEvPKT_iT0_S8_S8_S8_S8_iiiiiiiiS8_S8_S8_S8_iiPS5_Pl
                                        ; -- End function
	.section	.AMDGPU.csdata,"",@progbits
; Kernel info:
; codeLenInByte = 5616
; NumSgprs: 68
; NumVgprs: 64
; ScratchSize: 0
; MemoryBound: 0
; FloatMode: 240
; IeeeMode: 1
; LDSByteSize: 0 bytes/workgroup (compile time only)
; SGPRBlocks: 8
; VGPRBlocks: 7
; NumSGPRsForWavesPerEU: 68
; NumVGPRsForWavesPerEU: 64
; Occupancy: 16
; WaveLimiterHint : 1
; COMPUTE_PGM_RSRC2:SCRATCH_EN: 0
; COMPUTE_PGM_RSRC2:USER_SGPR: 13
; COMPUTE_PGM_RSRC2:TRAP_HANDLER: 0
; COMPUTE_PGM_RSRC2:TGID_X_EN: 1
; COMPUTE_PGM_RSRC2:TGID_Y_EN: 1
; COMPUTE_PGM_RSRC2:TGID_Z_EN: 1
; COMPUTE_PGM_RSRC2:TIDIG_COMP_CNT: 2
	.section	.text._ZN2at6native12_GLOBAL__N_121max_pool_forward_nchwIN3c104HalfEiEEvT0_PKT_llliiiiiiiiiiPS6_Pl,"axG",@progbits,_ZN2at6native12_GLOBAL__N_121max_pool_forward_nchwIN3c104HalfEiEEvT0_PKT_llliiiiiiiiiiPS6_Pl,comdat
	.globl	_ZN2at6native12_GLOBAL__N_121max_pool_forward_nchwIN3c104HalfEiEEvT0_PKT_llliiiiiiiiiiPS6_Pl ; -- Begin function _ZN2at6native12_GLOBAL__N_121max_pool_forward_nchwIN3c104HalfEiEEvT0_PKT_llliiiiiiiiiiPS6_Pl
	.p2align	8
	.type	_ZN2at6native12_GLOBAL__N_121max_pool_forward_nchwIN3c104HalfEiEEvT0_PKT_llliiiiiiiiiiPS6_Pl,@function
_ZN2at6native12_GLOBAL__N_121max_pool_forward_nchwIN3c104HalfEiEEvT0_PKT_llliiiiiiiiiiPS6_Pl: ; @_ZN2at6native12_GLOBAL__N_121max_pool_forward_nchwIN3c104HalfEiEEvT0_PKT_llliiiiiiiiiiPS6_Pl
; %bb.0:
	s_clause 0x1
	s_load_b32 s24, s[0:1], 0x0
	s_load_b32 s4, s[0:1], 0x6c
	v_mov_b32_e32 v2, 0
	s_delay_alu instid0(VALU_DEP_1)
	v_mov_b32_e32 v1, v2
	s_waitcnt lgkmcnt(0)
	s_ashr_i32 s25, s24, 31
	s_add_u32 s2, s0, 0x60
	s_addc_u32 s3, s1, 0
	s_and_b32 s28, s4, 0xffff
	s_mov_b32 s4, exec_lo
	v_mad_u64_u32 v[4:5], null, s28, s15, v[0:1]
	s_delay_alu instid0(VALU_DEP_1)
	v_cmpx_gt_i64_e64 s[24:25], v[4:5]
	s_cbranch_execz .LBB10_15
; %bb.1:
	s_load_b256 s[4:11], s[0:1], 0x28
	s_load_b32 s2, s[2:3], 0x0
	s_clause 0x2
	s_load_b64 s[26:27], s[0:1], 0x48
	s_load_b256 s[12:19], s[0:1], 0x8
	s_load_b128 s[20:23], s[0:1], 0x50
	s_mov_b32 s33, 0
	s_waitcnt lgkmcnt(0)
	s_abs_i32 s42, s5
	s_abs_i32 s44, s4
	v_cvt_f32_u32_e32 v0, s42
	v_cvt_f32_u32_e32 v1, s44
	s_max_u32 s39, s26, 1
	s_max_u32 s40, s27, 1
	v_cvt_f32_u32_e32 v3, s39
	v_rcp_iflag_f32_e32 v0, v0
	v_rcp_iflag_f32_e32 v1, v1
	v_cvt_f32_u32_e32 v6, s40
	s_add_i32 s1, s6, -1
	v_rcp_iflag_f32_e32 v3, v3
	v_cvt_f32_u32_e32 v7, s14
	s_mul_i32 s38, s2, s28
	v_rcp_iflag_f32_e32 v6, v6
	s_mul_i32 s2, s18, s17
	s_mul_i32 s17, s1, s26
	s_delay_alu instid0(TRANS32_DEP_3) | instskip(SKIP_2) | instid1(TRANS32_DEP_3)
	v_dual_mul_f32 v0, 0x4f7ffffe, v0 :: v_dual_mul_f32 v1, 0x4f7ffffe, v1
	s_sub_i32 s1, 0, s42
	v_rcp_iflag_f32_e32 v7, v7
	v_mul_f32_e32 v3, 0x4f7ffffe, v3
	s_delay_alu instid0(VALU_DEP_2)
	v_cvt_u32_f32_e32 v0, v0
	s_sub_i32 s30, 0, s39
	s_waitcnt_depctr 0xfff
	v_mul_f32_e32 v6, 0x4f7ffffe, v6
	v_cvt_u32_f32_e32 v1, v1
	v_cvt_u32_f32_e32 v3, v3
	v_mul_lo_u32 v8, s1, v0
	s_sub_i32 s28, 0, s14
	v_cvt_u32_f32_e32 v6, v6
	s_sub_i32 s29, 0, s44
	v_mul_lo_u32 v10, s30, v3
	s_sub_i32 s31, 0, s40
	v_mul_lo_u32 v9, s29, v1
	v_mul_lo_u32 v11, s31, v6
	v_mul_hi_u32 v8, v0, v8
	v_mul_f32_e32 v7, 0x4f7ffffe, v7
	s_mul_hi_u32 s6, s18, s16
	s_add_i32 s3, s7, -1
	v_mul_hi_u32 v12, v3, v10
	s_mul_i32 s7, s19, s16
	s_add_i32 s1, s6, s2
	v_mul_hi_u32 v9, v1, v9
	v_add_nc_u32_e32 v10, v0, v8
	v_cvt_u32_f32_e32 v7, v7
	v_mul_hi_u32 v13, v6, v11
	s_mul_i32 s0, s18, s16
	s_add_i32 s1, s1, s7
	v_add_nc_u32_e32 v12, v3, v12
	v_mul_lo_u32 v14, s28, v7
	s_lshl_b64 s[6:7], s[0:1], 1
	s_ashr_i32 s0, s26, 31
	s_mul_hi_u32 s1, s18, s26
	s_mul_i32 s0, s18, s0
	v_add_nc_u32_e32 v11, v1, v9
	s_add_i32 s0, s1, s0
	s_mul_i32 s1, s19, s26
	v_mul_hi_u32 v0, v7, v14
	v_add_nc_u32_e32 v13, v6, v13
	s_mul_i32 s45, s3, s27
	s_add_i32 s29, s0, s1
	s_mul_i32 s28, s26, s18
	s_ashr_i32 s1, s27, 31
	s_mov_b32 s0, s27
	s_ashr_i32 s41, s5, 31
	v_add_nc_u32_e32 v14, v7, v0
	s_ashr_i32 s43, s4, 31
	s_add_i32 s17, s17, 1
	s_add_i32 s45, s45, 1
	s_sub_i32 s46, 0, s10
	s_sub_i32 s47, 0, s11
	s_lshl_b64 s[30:31], s[28:29], 1
	s_lshl_b64 s[34:35], s[0:1], 1
	s_ashr_i32 s36, s15, 31
	s_branch .LBB10_4
.LBB10_2:                               ;   in Loop: Header=BB10_4 Depth=1
	s_set_inst_prefetch_distance 0x2
	s_or_b32 exec_lo, exec_lo, s29
.LBB10_3:                               ;   in Loop: Header=BB10_4 Depth=1
	s_delay_alu instid0(SALU_CYCLE_1) | instskip(SKIP_4) | instid1(VALU_DEP_3)
	s_or_b32 exec_lo, exec_lo, s3
	v_ashrrev_i32_e32 v7, 31, v4
	v_mov_b32_e32 v6, v4
	v_add_co_u32 v4, vcc_lo, v4, s38
	v_add_co_ci_u32_e32 v5, vcc_lo, 0, v5, vcc_lo
	v_lshlrev_b64 v[8:9], 1, v[6:7]
	v_lshlrev_b64 v[6:7], 3, v[6:7]
	v_ashrrev_i32_e32 v1, 31, v0
	s_delay_alu instid0(VALU_DEP_3) | instskip(NEXT) | instid1(VALU_DEP_4)
	v_add_co_u32 v8, vcc_lo, s20, v8
	v_add_co_ci_u32_e32 v9, vcc_lo, s21, v9, vcc_lo
	v_cmp_le_i64_e32 vcc_lo, s[24:25], v[4:5]
	v_add_co_u32 v6, s0, s22, v6
	s_delay_alu instid0(VALU_DEP_1) | instskip(SKIP_3) | instid1(SALU_CYCLE_1)
	v_add_co_ci_u32_e64 v7, s0, s23, v7, s0
	global_store_b16 v[8:9], v17, off
	global_store_b64 v[6:7], v[0:1], off
	s_or_b32 s33, vcc_lo, s33
	s_and_not1_b32 exec_lo, exec_lo, s33
	s_cbranch_execz .LBB10_15
.LBB10_4:                               ; =>This Loop Header: Depth=1
                                        ;     Child Loop BB10_11 Depth 2
                                        ;       Child Loop BB10_13 Depth 3
	v_sub_nc_u32_e32 v0, 0, v4
	s_mov_b32 s0, exec_lo
	s_delay_alu instid0(VALU_DEP_1) | instskip(NEXT) | instid1(VALU_DEP_1)
	v_max_i32_e32 v0, v4, v0
	v_mul_hi_u32 v1, v0, v10
	s_delay_alu instid0(VALU_DEP_1) | instskip(NEXT) | instid1(VALU_DEP_1)
	v_mul_lo_u32 v3, v1, s42
	v_sub_nc_u32_e32 v0, v0, v3
	s_delay_alu instid0(VALU_DEP_1) | instskip(SKIP_1) | instid1(VALU_DEP_2)
	v_subrev_nc_u32_e32 v6, s42, v0
	v_cmp_le_u32_e32 vcc_lo, s42, v0
	v_dual_cndmask_b32 v0, v0, v6 :: v_dual_add_nc_u32 v3, 1, v1
	s_delay_alu instid0(VALU_DEP_1) | instskip(SKIP_1) | instid1(VALU_DEP_3)
	v_cndmask_b32_e32 v1, v1, v3, vcc_lo
	v_ashrrev_i32_e32 v3, 31, v4
	v_cmp_le_u32_e32 vcc_lo, s42, v0
	s_delay_alu instid0(VALU_DEP_3) | instskip(NEXT) | instid1(VALU_DEP_3)
	v_add_nc_u32_e32 v6, 1, v1
	v_xor_b32_e32 v3, s41, v3
	s_delay_alu instid0(VALU_DEP_2) | instskip(NEXT) | instid1(VALU_DEP_1)
	v_cndmask_b32_e32 v0, v1, v6, vcc_lo
	v_xor_b32_e32 v0, v0, v3
	s_delay_alu instid0(VALU_DEP_1) | instskip(NEXT) | instid1(VALU_DEP_1)
	v_sub_nc_u32_e32 v0, v0, v3
	v_sub_nc_u32_e32 v1, 0, v0
	s_delay_alu instid0(VALU_DEP_1) | instskip(NEXT) | instid1(VALU_DEP_1)
	v_max_i32_e32 v1, v0, v1
	v_mul_hi_u32 v3, v1, v11
	s_delay_alu instid0(VALU_DEP_1) | instskip(NEXT) | instid1(VALU_DEP_1)
	v_mul_lo_u32 v6, v3, s44
	v_sub_nc_u32_e32 v1, v1, v6
	v_add_nc_u32_e32 v6, 1, v3
	s_delay_alu instid0(VALU_DEP_2) | instskip(SKIP_1) | instid1(VALU_DEP_3)
	v_subrev_nc_u32_e32 v7, s44, v1
	v_cmp_le_u32_e32 vcc_lo, s44, v1
	v_cndmask_b32_e32 v3, v3, v6, vcc_lo
	s_delay_alu instid0(VALU_DEP_3) | instskip(SKIP_1) | instid1(VALU_DEP_3)
	v_cndmask_b32_e32 v1, v1, v7, vcc_lo
	v_ashrrev_i32_e32 v6, 31, v0
	v_add_nc_u32_e32 v7, 1, v3
	s_delay_alu instid0(VALU_DEP_3) | instskip(NEXT) | instid1(VALU_DEP_3)
	v_cmp_le_u32_e32 vcc_lo, s44, v1
	v_xor_b32_e32 v6, s43, v6
	s_delay_alu instid0(VALU_DEP_3) | instskip(NEXT) | instid1(VALU_DEP_1)
	v_cndmask_b32_e32 v1, v3, v7, vcc_lo
	v_xor_b32_e32 v1, v1, v6
	s_delay_alu instid0(VALU_DEP_1) | instskip(NEXT) | instid1(VALU_DEP_1)
	v_sub_nc_u32_e32 v8, v1, v6
                                        ; implicit-def: $vgpr6_vgpr7
	v_ashrrev_i32_e32 v9, 31, v8
	s_delay_alu instid0(VALU_DEP_1) | instskip(NEXT) | instid1(VALU_DEP_1)
	v_or_b32_e32 v3, s15, v9
	v_cmpx_ne_u64_e32 0, v[2:3]
	s_xor_b32 s1, exec_lo, s0
	s_cbranch_execz .LBB10_6
; %bb.5:                                ;   in Loop: Header=BB10_4 Depth=1
	s_add_u32 s2, s14, s36
	s_mov_b32 s37, s36
	s_addc_u32 s3, s15, s36
	v_mov_b32_e32 v20, v9
	s_xor_b64 s[2:3], s[2:3], s[36:37]
	s_delay_alu instid0(SALU_CYCLE_1) | instskip(SKIP_3) | instid1(VALU_DEP_1)
	v_cvt_f32_u32_e32 v1, s2
	v_cvt_f32_u32_e32 v3, s3
	s_sub_u32 s0, 0, s2
	s_subb_u32 s29, 0, s3
	v_fmac_f32_e32 v1, 0x4f800000, v3
	s_delay_alu instid0(VALU_DEP_1) | instskip(SKIP_2) | instid1(VALU_DEP_1)
	v_rcp_f32_e32 v1, v1
	s_waitcnt_depctr 0xfff
	v_mul_f32_e32 v1, 0x5f7ffffc, v1
	v_mul_f32_e32 v3, 0x2f800000, v1
	s_delay_alu instid0(VALU_DEP_1) | instskip(NEXT) | instid1(VALU_DEP_1)
	v_trunc_f32_e32 v3, v3
	v_fmac_f32_e32 v1, 0xcf800000, v3
	v_cvt_u32_f32_e32 v3, v3
	s_delay_alu instid0(VALU_DEP_2) | instskip(NEXT) | instid1(VALU_DEP_2)
	v_cvt_u32_f32_e32 v1, v1
	v_mul_lo_u32 v6, s0, v3
	s_delay_alu instid0(VALU_DEP_2) | instskip(SKIP_1) | instid1(VALU_DEP_2)
	v_mul_hi_u32 v7, s0, v1
	v_mul_lo_u32 v15, s29, v1
	v_add_nc_u32_e32 v6, v7, v6
	v_mul_lo_u32 v7, s0, v1
	s_delay_alu instid0(VALU_DEP_2) | instskip(NEXT) | instid1(VALU_DEP_2)
	v_add_nc_u32_e32 v6, v6, v15
	v_mul_hi_u32 v15, v1, v7
	s_delay_alu instid0(VALU_DEP_2)
	v_mul_lo_u32 v16, v1, v6
	v_mul_hi_u32 v17, v1, v6
	v_mul_hi_u32 v18, v3, v7
	v_mul_lo_u32 v7, v3, v7
	v_mul_hi_u32 v19, v3, v6
	v_mul_lo_u32 v6, v3, v6
	v_add_co_u32 v15, vcc_lo, v15, v16
	v_add_co_ci_u32_e32 v16, vcc_lo, 0, v17, vcc_lo
	s_delay_alu instid0(VALU_DEP_2) | instskip(NEXT) | instid1(VALU_DEP_2)
	v_add_co_u32 v7, vcc_lo, v15, v7
	v_add_co_ci_u32_e32 v7, vcc_lo, v16, v18, vcc_lo
	v_add_co_ci_u32_e32 v15, vcc_lo, 0, v19, vcc_lo
	v_mov_b32_e32 v19, v9
	s_delay_alu instid0(VALU_DEP_3) | instskip(NEXT) | instid1(VALU_DEP_3)
	v_add_co_u32 v6, vcc_lo, v7, v6
	v_add_co_ci_u32_e32 v7, vcc_lo, 0, v15, vcc_lo
	s_delay_alu instid0(VALU_DEP_2) | instskip(NEXT) | instid1(VALU_DEP_2)
	v_add_co_u32 v1, vcc_lo, v1, v6
	v_add_co_ci_u32_e32 v3, vcc_lo, v3, v7, vcc_lo
	s_delay_alu instid0(VALU_DEP_2) | instskip(SKIP_1) | instid1(VALU_DEP_3)
	v_mul_hi_u32 v6, s0, v1
	v_mul_lo_u32 v15, s29, v1
	v_mul_lo_u32 v7, s0, v3
	s_delay_alu instid0(VALU_DEP_1) | instskip(SKIP_1) | instid1(VALU_DEP_2)
	v_add_nc_u32_e32 v6, v6, v7
	v_mul_lo_u32 v7, s0, v1
	v_add_nc_u32_e32 v6, v6, v15
	s_delay_alu instid0(VALU_DEP_2) | instskip(NEXT) | instid1(VALU_DEP_2)
	v_mul_hi_u32 v15, v1, v7
	v_mul_lo_u32 v16, v1, v6
	v_mul_hi_u32 v17, v1, v6
	v_mul_hi_u32 v18, v3, v7
	v_mul_lo_u32 v7, v3, v7
	v_mul_hi_u32 v21, v3, v6
	v_mul_lo_u32 v6, v3, v6
	v_add_co_u32 v15, vcc_lo, v15, v16
	v_add_co_ci_u32_e32 v16, vcc_lo, 0, v17, vcc_lo
	s_delay_alu instid0(VALU_DEP_2) | instskip(NEXT) | instid1(VALU_DEP_2)
	v_add_co_u32 v7, vcc_lo, v15, v7
	v_add_co_ci_u32_e32 v7, vcc_lo, v16, v18, vcc_lo
	v_add_co_ci_u32_e32 v15, vcc_lo, 0, v21, vcc_lo
	v_add_co_u32 v16, vcc_lo, v8, v19
	v_add_co_ci_u32_e32 v17, vcc_lo, v9, v20, vcc_lo
	s_delay_alu instid0(VALU_DEP_4) | instskip(NEXT) | instid1(VALU_DEP_4)
	v_add_co_u32 v6, vcc_lo, v7, v6
	v_add_co_ci_u32_e32 v7, vcc_lo, 0, v15, vcc_lo
	s_delay_alu instid0(VALU_DEP_4) | instskip(NEXT) | instid1(VALU_DEP_3)
	v_xor_b32_e32 v21, v16, v19
	v_add_co_u32 v1, vcc_lo, v1, v6
	s_delay_alu instid0(VALU_DEP_3) | instskip(SKIP_1) | instid1(VALU_DEP_3)
	v_add_co_ci_u32_e32 v3, vcc_lo, v3, v7, vcc_lo
	v_xor_b32_e32 v22, v17, v20
	v_mul_hi_u32 v23, v21, v1
	s_delay_alu instid0(VALU_DEP_3) | instskip(NEXT) | instid1(VALU_DEP_3)
	v_mad_u64_u32 v[6:7], null, v21, v3, 0
	v_mad_u64_u32 v[15:16], null, v22, v1, 0
	;; [unrolled: 1-line block ×3, first 2 shown]
	s_delay_alu instid0(VALU_DEP_3) | instskip(NEXT) | instid1(VALU_DEP_4)
	v_add_co_u32 v1, vcc_lo, v23, v6
	v_add_co_ci_u32_e32 v3, vcc_lo, 0, v7, vcc_lo
	s_delay_alu instid0(VALU_DEP_2) | instskip(NEXT) | instid1(VALU_DEP_2)
	v_add_co_u32 v1, vcc_lo, v1, v15
	v_add_co_ci_u32_e32 v1, vcc_lo, v3, v16, vcc_lo
	v_add_co_ci_u32_e32 v3, vcc_lo, 0, v18, vcc_lo
	s_delay_alu instid0(VALU_DEP_2) | instskip(NEXT) | instid1(VALU_DEP_2)
	v_add_co_u32 v1, vcc_lo, v1, v17
	v_add_co_ci_u32_e32 v3, vcc_lo, 0, v3, vcc_lo
	s_delay_alu instid0(VALU_DEP_2) | instskip(SKIP_1) | instid1(VALU_DEP_3)
	v_mul_lo_u32 v15, s3, v1
	v_mad_u64_u32 v[6:7], null, s2, v1, 0
	v_mul_lo_u32 v16, s2, v3
	s_delay_alu instid0(VALU_DEP_2) | instskip(NEXT) | instid1(VALU_DEP_2)
	v_sub_co_u32 v6, vcc_lo, v21, v6
	v_add3_u32 v7, v7, v16, v15
	s_delay_alu instid0(VALU_DEP_1) | instskip(NEXT) | instid1(VALU_DEP_1)
	v_sub_nc_u32_e32 v15, v22, v7
	v_subrev_co_ci_u32_e64 v15, s0, s3, v15, vcc_lo
	v_add_co_u32 v16, s0, v1, 2
	s_delay_alu instid0(VALU_DEP_1) | instskip(SKIP_3) | instid1(VALU_DEP_3)
	v_add_co_ci_u32_e64 v17, s0, 0, v3, s0
	v_sub_co_u32 v18, s0, v6, s2
	v_sub_co_ci_u32_e32 v7, vcc_lo, v22, v7, vcc_lo
	v_subrev_co_ci_u32_e64 v15, s0, 0, v15, s0
	v_cmp_le_u32_e32 vcc_lo, s2, v18
	s_delay_alu instid0(VALU_DEP_3) | instskip(SKIP_1) | instid1(VALU_DEP_4)
	v_cmp_eq_u32_e64 s0, s3, v7
	v_cndmask_b32_e64 v18, 0, -1, vcc_lo
	v_cmp_le_u32_e32 vcc_lo, s3, v15
	v_cndmask_b32_e64 v21, 0, -1, vcc_lo
	v_cmp_le_u32_e32 vcc_lo, s2, v6
	;; [unrolled: 2-line block ×3, first 2 shown]
	v_cndmask_b32_e64 v22, 0, -1, vcc_lo
	v_cmp_eq_u32_e32 vcc_lo, s3, v15
	s_delay_alu instid0(VALU_DEP_2) | instskip(SKIP_3) | instid1(VALU_DEP_3)
	v_cndmask_b32_e64 v6, v22, v6, s0
	v_cndmask_b32_e32 v15, v21, v18, vcc_lo
	v_add_co_u32 v18, vcc_lo, v1, 1
	v_add_co_ci_u32_e32 v21, vcc_lo, 0, v3, vcc_lo
	v_cmp_ne_u32_e32 vcc_lo, 0, v15
	s_delay_alu instid0(VALU_DEP_2) | instskip(NEXT) | instid1(VALU_DEP_4)
	v_cndmask_b32_e32 v7, v21, v17, vcc_lo
	v_cndmask_b32_e32 v15, v18, v16, vcc_lo
	v_cmp_ne_u32_e32 vcc_lo, 0, v6
	v_xor_b32_e32 v6, s36, v19
	s_delay_alu instid0(VALU_DEP_3) | instskip(SKIP_2) | instid1(VALU_DEP_3)
	v_cndmask_b32_e32 v1, v1, v15, vcc_lo
	v_cndmask_b32_e32 v3, v3, v7, vcc_lo
	v_xor_b32_e32 v7, s36, v20
	v_xor_b32_e32 v1, v1, v6
	s_delay_alu instid0(VALU_DEP_2) | instskip(NEXT) | instid1(VALU_DEP_2)
	v_xor_b32_e32 v3, v3, v7
	v_sub_co_u32 v6, vcc_lo, v1, v6
	s_delay_alu instid0(VALU_DEP_2)
	v_sub_co_ci_u32_e32 v7, vcc_lo, v3, v7, vcc_lo
.LBB10_6:                               ;   in Loop: Header=BB10_4 Depth=1
	s_and_not1_saveexec_b32 s0, s1
; %bb.7:                                ;   in Loop: Header=BB10_4 Depth=1
	v_mul_hi_u32 v1, v8, v14
	s_delay_alu instid0(VALU_DEP_1) | instskip(NEXT) | instid1(VALU_DEP_1)
	v_mul_lo_u32 v3, v1, s14
	v_sub_nc_u32_e32 v3, v8, v3
	s_delay_alu instid0(VALU_DEP_1) | instskip(SKIP_1) | instid1(VALU_DEP_2)
	v_subrev_nc_u32_e32 v7, s14, v3
	v_cmp_le_u32_e32 vcc_lo, s14, v3
	v_dual_cndmask_b32 v3, v3, v7 :: v_dual_add_nc_u32 v6, 1, v1
	s_delay_alu instid0(VALU_DEP_1) | instskip(SKIP_1) | instid1(VALU_DEP_3)
	v_cndmask_b32_e32 v1, v1, v6, vcc_lo
	v_mov_b32_e32 v7, v2
	v_cmp_le_u32_e32 vcc_lo, s14, v3
	s_delay_alu instid0(VALU_DEP_3) | instskip(NEXT) | instid1(VALU_DEP_1)
	v_add_nc_u32_e32 v6, 1, v1
	v_cndmask_b32_e32 v6, v1, v6, vcc_lo
; %bb.8:                                ;   in Loop: Header=BB10_4 Depth=1
	s_or_b32 exec_lo, exec_lo, s0
	v_mul_lo_u32 v1, v8, s4
	v_mul_lo_u32 v3, v0, s5
	s_mov_b32 s3, exec_lo
	s_delay_alu instid0(VALU_DEP_2) | instskip(NEXT) | instid1(VALU_DEP_2)
	v_sub_nc_u32_e32 v0, v0, v1
	v_sub_nc_u32_e32 v1, v4, v3
	s_delay_alu instid0(VALU_DEP_2) | instskip(NEXT) | instid1(VALU_DEP_2)
	v_mul_lo_u32 v20, v0, s8
	v_mul_lo_u32 v19, v1, s9
	s_delay_alu instid0(VALU_DEP_2) | instskip(NEXT) | instid1(VALU_DEP_2)
	v_subrev_nc_u32_e32 v0, s10, v20
	v_subrev_nc_u32_e32 v18, s11, v19
	s_delay_alu instid0(VALU_DEP_2) | instskip(NEXT) | instid1(VALU_DEP_2)
	v_max_i32_e32 v1, 0, v0
	v_max_i32_e32 v3, 0, v18
	s_delay_alu instid0(VALU_DEP_2) | instskip(NEXT) | instid1(VALU_DEP_2)
	v_add_nc_u32_e32 v1, s10, v1
	v_add_nc_u32_e32 v3, s11, v3
	s_delay_alu instid0(VALU_DEP_2) | instskip(NEXT) | instid1(VALU_DEP_2)
	v_cmp_ne_u32_e32 vcc_lo, v1, v20
	v_cmp_ne_u32_e64 s0, v3, v19
	v_cndmask_b32_e64 v15, 0, 1, vcc_lo
	s_delay_alu instid0(VALU_DEP_2) | instskip(NEXT) | instid1(VALU_DEP_2)
	v_cndmask_b32_e64 v16, 0, 1, s0
	v_add_nc_u32_e32 v15, v20, v15
	s_delay_alu instid0(VALU_DEP_2) | instskip(NEXT) | instid1(VALU_DEP_2)
	v_add_nc_u32_e32 v16, v19, v16
	v_sub_nc_u32_e32 v1, v1, v15
	s_delay_alu instid0(VALU_DEP_1) | instskip(NEXT) | instid1(VALU_DEP_1)
	v_mul_hi_u32 v15, v1, v12
	v_mul_lo_u32 v17, v15, s39
	s_delay_alu instid0(VALU_DEP_1) | instskip(SKIP_1) | instid1(VALU_DEP_2)
	v_sub_nc_u32_e32 v1, v1, v17
	v_add_nc_u32_e32 v17, 1, v15
	v_cmp_le_u32_e64 s1, s39, v1
	s_delay_alu instid0(VALU_DEP_1) | instskip(SKIP_1) | instid1(VALU_DEP_1)
	v_cndmask_b32_e64 v15, v15, v17, s1
	v_subrev_nc_u32_e32 v17, s39, v1
	v_cndmask_b32_e64 v1, v1, v17, s1
	s_delay_alu instid0(VALU_DEP_3) | instskip(NEXT) | instid1(VALU_DEP_2)
	v_add_nc_u32_e32 v17, 1, v15
	v_cmp_le_u32_e64 s1, s39, v1
	s_delay_alu instid0(VALU_DEP_1) | instskip(SKIP_2) | instid1(VALU_DEP_3)
	v_cndmask_b32_e64 v1, v15, v17, s1
	v_mov_b32_e32 v17, 0xfffffc00
	v_sub_nc_u32_e32 v3, v3, v16
	v_add_co_ci_u32_e32 v1, vcc_lo, 0, v1, vcc_lo
	s_delay_alu instid0(VALU_DEP_2) | instskip(NEXT) | instid1(VALU_DEP_1)
	v_mul_hi_u32 v16, v3, v13
	v_mul_lo_u32 v21, v16, s40
	s_delay_alu instid0(VALU_DEP_1) | instskip(SKIP_1) | instid1(VALU_DEP_2)
	v_sub_nc_u32_e32 v3, v3, v21
	v_add_nc_u32_e32 v21, 1, v16
	v_subrev_nc_u32_e32 v22, s40, v3
	v_cmp_le_u32_e64 s2, s40, v3
	s_delay_alu instid0(VALU_DEP_1) | instskip(NEXT) | instid1(VALU_DEP_3)
	v_cndmask_b32_e64 v16, v16, v21, s2
	v_cndmask_b32_e64 v3, v3, v22, s2
	v_mul_lo_u32 v22, v1, s26
	v_add_nc_u32_e32 v1, s17, v0
	s_delay_alu instid0(VALU_DEP_4) | instskip(NEXT) | instid1(VALU_DEP_4)
	v_add_nc_u32_e32 v21, 1, v16
	v_cmp_le_u32_e64 s1, s40, v3
	s_delay_alu instid0(VALU_DEP_4) | instskip(NEXT) | instid1(VALU_DEP_2)
	v_add_nc_u32_e32 v15, v0, v22
	v_cndmask_b32_e64 v3, v16, v21, s1
	v_min_i32_e32 v16, s16, v1
	s_delay_alu instid0(VALU_DEP_2) | instskip(NEXT) | instid1(VALU_DEP_1)
	v_add_co_ci_u32_e64 v3, vcc_lo, 0, v3, s0
	v_mul_lo_u32 v21, v3, s27
	s_delay_alu instid0(VALU_DEP_1) | instskip(NEXT) | instid1(VALU_DEP_1)
	v_add_nc_u32_e32 v3, v18, v21
	v_mad_u64_u32 v[0:1], null, v15, s18, v[3:4]
	v_cmpx_lt_i32_e64 v15, v16
	s_cbranch_execz .LBB10_3
; %bb.9:                                ;   in Loop: Header=BB10_4 Depth=1
	v_mul_lo_u32 v1, v7, s14
	v_mul_lo_u32 v17, v6, s15
	v_add3_u32 v25, s46, v20, v22
	v_mad_u64_u32 v[22:23], null, v6, s14, 0
	v_add3_u32 v19, s47, v19, v21
	s_mov_b32 s29, 0
	s_delay_alu instid0(VALU_DEP_3) | instskip(SKIP_1) | instid1(VALU_DEP_3)
	v_ashrrev_i32_e32 v7, 31, v25
	v_mul_lo_u32 v26, s19, v25
	v_ashrrev_i32_e32 v20, 31, v19
	v_add3_u32 v1, v23, v17, v1
	s_delay_alu instid0(VALU_DEP_4) | instskip(SKIP_1) | instid1(VALU_DEP_4)
	v_mul_lo_u32 v21, s18, v7
	v_sub_co_u32 v7, vcc_lo, v8, v22
	v_mad_u64_u32 v[23:24], null, s18, v25, v[19:20]
	s_delay_alu instid0(VALU_DEP_4) | instskip(SKIP_1) | instid1(VALU_DEP_2)
	v_sub_co_ci_u32_e32 v8, vcc_lo, v9, v1, vcc_lo
	v_ashrrev_i32_e32 v1, 31, v6
	v_mad_u64_u32 v[19:20], null, v6, s14, v[7:8]
	s_delay_alu instid0(VALU_DEP_2) | instskip(SKIP_1) | instid1(VALU_DEP_1)
	v_mul_lo_u32 v1, v1, s14
	v_add3_u32 v24, v26, v24, v21
	v_lshlrev_b64 v[6:7], 1, v[23:24]
	s_delay_alu instid0(VALU_DEP_3)
	v_add3_u32 v1, v1, v20, v17
	v_mul_lo_u32 v20, s7, v19
	v_add_nc_u32_e32 v17, s45, v18
	v_mul_lo_u32 v18, s18, v25
	v_mad_u64_u32 v[8:9], null, s6, v19, v[6:7]
	v_mul_lo_u32 v6, s6, v1
	s_delay_alu instid0(VALU_DEP_4) | instskip(SKIP_1) | instid1(VALU_DEP_2)
	v_min_i32_e32 v1, s18, v17
	v_mov_b32_e32 v17, 0xfffffc00
	v_cmp_lt_i32_e32 vcc_lo, v3, v1
	s_delay_alu instid0(VALU_DEP_4) | instskip(SKIP_1) | instid1(VALU_DEP_1)
	v_add3_u32 v7, v20, v9, v6
	v_add_co_u32 v6, s0, s12, v8
	v_add_co_ci_u32_e64 v7, s0, s13, v7, s0
	s_set_inst_prefetch_distance 0x1
	s_branch .LBB10_11
	.p2align	6
.LBB10_10:                              ;   in Loop: Header=BB10_11 Depth=2
	s_or_b32 exec_lo, exec_lo, s37
	v_add_nc_u32_e32 v15, s26, v15
	v_add_co_u32 v6, s1, v6, s30
	s_delay_alu instid0(VALU_DEP_1) | instskip(NEXT) | instid1(VALU_DEP_3)
	v_add_co_ci_u32_e64 v7, s1, s31, v7, s1
	v_cmp_ge_i32_e64 s0, v15, v16
	v_add_nc_u32_e32 v18, s28, v18
	s_delay_alu instid0(VALU_DEP_2) | instskip(NEXT) | instid1(SALU_CYCLE_1)
	s_or_b32 s29, s0, s29
	s_and_not1_b32 exec_lo, exec_lo, s29
	s_cbranch_execz .LBB10_2
.LBB10_11:                              ;   Parent Loop BB10_4 Depth=1
                                        ; =>  This Loop Header: Depth=2
                                        ;       Child Loop BB10_13 Depth 3
	s_and_saveexec_b32 s37, vcc_lo
	s_cbranch_execz .LBB10_10
; %bb.12:                               ;   in Loop: Header=BB10_11 Depth=2
	v_dual_mov_b32 v9, v7 :: v_dual_mov_b32 v8, v6
	v_mov_b32_e32 v19, v3
	s_mov_b32 s48, 0
	.p2align	6
.LBB10_13:                              ;   Parent Loop BB10_4 Depth=1
                                        ;     Parent Loop BB10_11 Depth=2
                                        ; =>    This Inner Loop Header: Depth=3
	global_load_u16 v20, v[8:9], off
	v_add_nc_u32_e32 v21, v18, v19
	v_add_nc_u32_e32 v19, s27, v19
	v_add_co_u32 v8, s2, v8, s34
	s_delay_alu instid0(VALU_DEP_1) | instskip(NEXT) | instid1(VALU_DEP_3)
	v_add_co_ci_u32_e64 v9, s2, s35, v9, s2
	v_cmp_ge_i32_e64 s2, v19, v1
	s_waitcnt vmcnt(0)
	v_cmp_gt_f16_e64 s0, v20, v17
	v_cmp_u_f16_e64 s1, v20, v20
	s_delay_alu instid0(VALU_DEP_1)
	s_or_b32 s0, s0, s1
	s_or_b32 s48, s2, s48
	v_cndmask_b32_e64 v17, v17, v20, s0
	v_cndmask_b32_e64 v0, v0, v21, s0
	s_and_not1_b32 exec_lo, exec_lo, s48
	s_cbranch_execnz .LBB10_13
; %bb.14:                               ;   in Loop: Header=BB10_11 Depth=2
	s_or_b32 exec_lo, exec_lo, s48
	s_branch .LBB10_10
.LBB10_15:
	s_nop 0
	s_sendmsg sendmsg(MSG_DEALLOC_VGPRS)
	s_endpgm
	.section	.rodata,"a",@progbits
	.p2align	6, 0x0
	.amdhsa_kernel _ZN2at6native12_GLOBAL__N_121max_pool_forward_nchwIN3c104HalfEiEEvT0_PKT_llliiiiiiiiiiPS6_Pl
		.amdhsa_group_segment_fixed_size 0
		.amdhsa_private_segment_fixed_size 0
		.amdhsa_kernarg_size 352
		.amdhsa_user_sgpr_count 15
		.amdhsa_user_sgpr_dispatch_ptr 0
		.amdhsa_user_sgpr_queue_ptr 0
		.amdhsa_user_sgpr_kernarg_segment_ptr 1
		.amdhsa_user_sgpr_dispatch_id 0
		.amdhsa_user_sgpr_private_segment_size 0
		.amdhsa_wavefront_size32 1
		.amdhsa_uses_dynamic_stack 0
		.amdhsa_enable_private_segment 0
		.amdhsa_system_sgpr_workgroup_id_x 1
		.amdhsa_system_sgpr_workgroup_id_y 0
		.amdhsa_system_sgpr_workgroup_id_z 0
		.amdhsa_system_sgpr_workgroup_info 0
		.amdhsa_system_vgpr_workitem_id 0
		.amdhsa_next_free_vgpr 27
		.amdhsa_next_free_sgpr 49
		.amdhsa_reserve_vcc 1
		.amdhsa_float_round_mode_32 0
		.amdhsa_float_round_mode_16_64 0
		.amdhsa_float_denorm_mode_32 3
		.amdhsa_float_denorm_mode_16_64 3
		.amdhsa_dx10_clamp 1
		.amdhsa_ieee_mode 1
		.amdhsa_fp16_overflow 0
		.amdhsa_workgroup_processor_mode 1
		.amdhsa_memory_ordered 1
		.amdhsa_forward_progress 0
		.amdhsa_shared_vgpr_count 0
		.amdhsa_exception_fp_ieee_invalid_op 0
		.amdhsa_exception_fp_denorm_src 0
		.amdhsa_exception_fp_ieee_div_zero 0
		.amdhsa_exception_fp_ieee_overflow 0
		.amdhsa_exception_fp_ieee_underflow 0
		.amdhsa_exception_fp_ieee_inexact 0
		.amdhsa_exception_int_div_zero 0
	.end_amdhsa_kernel
	.section	.text._ZN2at6native12_GLOBAL__N_121max_pool_forward_nchwIN3c104HalfEiEEvT0_PKT_llliiiiiiiiiiPS6_Pl,"axG",@progbits,_ZN2at6native12_GLOBAL__N_121max_pool_forward_nchwIN3c104HalfEiEEvT0_PKT_llliiiiiiiiiiPS6_Pl,comdat
.Lfunc_end10:
	.size	_ZN2at6native12_GLOBAL__N_121max_pool_forward_nchwIN3c104HalfEiEEvT0_PKT_llliiiiiiiiiiPS6_Pl, .Lfunc_end10-_ZN2at6native12_GLOBAL__N_121max_pool_forward_nchwIN3c104HalfEiEEvT0_PKT_llliiiiiiiiiiPS6_Pl
                                        ; -- End function
	.section	.AMDGPU.csdata,"",@progbits
; Kernel info:
; codeLenInByte = 2636
; NumSgprs: 51
; NumVgprs: 27
; ScratchSize: 0
; MemoryBound: 0
; FloatMode: 240
; IeeeMode: 1
; LDSByteSize: 0 bytes/workgroup (compile time only)
; SGPRBlocks: 6
; VGPRBlocks: 3
; NumSGPRsForWavesPerEU: 51
; NumVGPRsForWavesPerEU: 27
; Occupancy: 16
; WaveLimiterHint : 0
; COMPUTE_PGM_RSRC2:SCRATCH_EN: 0
; COMPUTE_PGM_RSRC2:USER_SGPR: 15
; COMPUTE_PGM_RSRC2:TRAP_HANDLER: 0
; COMPUTE_PGM_RSRC2:TGID_X_EN: 1
; COMPUTE_PGM_RSRC2:TGID_Y_EN: 0
; COMPUTE_PGM_RSRC2:TGID_Z_EN: 0
; COMPUTE_PGM_RSRC2:TIDIG_COMP_CNT: 0
	.section	.text._ZN2at6native12_GLOBAL__N_121max_pool_forward_nchwIN3c104HalfElEEvT0_PKT_llliiiiiiiiiiPS6_Pl,"axG",@progbits,_ZN2at6native12_GLOBAL__N_121max_pool_forward_nchwIN3c104HalfElEEvT0_PKT_llliiiiiiiiiiPS6_Pl,comdat
	.globl	_ZN2at6native12_GLOBAL__N_121max_pool_forward_nchwIN3c104HalfElEEvT0_PKT_llliiiiiiiiiiPS6_Pl ; -- Begin function _ZN2at6native12_GLOBAL__N_121max_pool_forward_nchwIN3c104HalfElEEvT0_PKT_llliiiiiiiiiiPS6_Pl
	.p2align	8
	.type	_ZN2at6native12_GLOBAL__N_121max_pool_forward_nchwIN3c104HalfElEEvT0_PKT_llliiiiiiiiiiPS6_Pl,@function
_ZN2at6native12_GLOBAL__N_121max_pool_forward_nchwIN3c104HalfElEEvT0_PKT_llliiiiiiiiiiPS6_Pl: ; @_ZN2at6native12_GLOBAL__N_121max_pool_forward_nchwIN3c104HalfElEEvT0_PKT_llliiiiiiiiiiPS6_Pl
; %bb.0:
	s_clause 0x1
	s_load_b32 s4, s[0:1], 0x6c
	s_load_b128 s[16:19], s[0:1], 0x0
	v_mov_b32_e32 v2, 0
	s_add_u32 s2, s0, 0x60
	s_addc_u32 s3, s1, 0
	s_delay_alu instid0(VALU_DEP_1) | instskip(SKIP_3) | instid1(VALU_DEP_1)
	v_mov_b32_e32 v1, v2
	s_waitcnt lgkmcnt(0)
	s_and_b32 s26, s4, 0xffff
	s_mov_b32 s4, exec_lo
	v_mad_u64_u32 v[4:5], null, s26, s15, v[0:1]
	s_delay_alu instid0(VALU_DEP_1)
	v_cmpx_gt_i64_e64 s[16:17], v[4:5]
	s_cbranch_execz .LBB11_27
; %bb.1:
	s_clause 0x3
	s_load_b256 s[4:11], s[0:1], 0x28
	s_load_b64 s[24:25], s[0:1], 0x48
	s_load_b128 s[12:15], s[0:1], 0x18
	s_load_b128 s[20:23], s[0:1], 0x50
	s_load_b32 s0, s[2:3], 0x0
	s_mov_b32 s47, 0
	s_waitcnt lgkmcnt(0)
	v_cvt_f32_u32_e32 v0, s5
	s_add_i32 s1, s6, -1
	s_add_i32 s2, s7, -1
	s_ashr_i32 s7, s24, 31
	s_mov_b32 s6, s24
	v_rcp_iflag_f32_e32 v0, v0
	s_ashr_i32 s33, s8, 31
	s_mov_b32 s34, s8
	s_ashr_i32 s37, s9, 31
	s_mov_b32 s38, s9
	;; [unrolled: 2-line block ×3, first 2 shown]
	s_mul_i32 s41, s1, s24
	v_cmp_gt_u64_e64 s1, s[6:7], 1
	s_mul_i32 s42, s2, s25
	v_cmp_gt_u64_e64 s2, s[8:9], 1
	s_ashr_i32 s30, s5, 31
	s_ashr_i32 s31, s4, 31
	;; [unrolled: 1-line block ×4, first 2 shown]
	s_add_i32 s41, s41, 1
	s_add_i32 s42, s42, 1
	s_and_b32 s1, s1, exec_lo
	s_waitcnt_depctr 0xfff
	v_mul_f32_e32 v0, 0x4f7ffffe, v0
	s_cselect_b32 s43, s7, 0
	s_cselect_b32 s44, s24, 1
	s_and_b32 s1, s2, exec_lo
	s_mul_i32 s1, s14, s13
	s_mul_hi_u32 s2, s14, s12
	s_cselect_b32 s45, s9, 0
	s_cselect_b32 s13, s25, 1
	s_add_i32 s1, s2, s1
	s_mul_i32 s2, s15, s12
	v_cvt_u32_f32_e32 v18, v0
	s_mul_i32 s46, s0, s26
	s_add_i32 s1, s1, s2
	s_mul_i32 s0, s14, s12
	s_mov_b32 s36, s10
	s_mov_b32 s40, s11
	s_lshl_b64 s[10:11], s[0:1], 1
	s_lshl_b64 s[26:27], s[8:9], 1
	s_branch .LBB11_4
.LBB11_2:                               ;   in Loop: Header=BB11_4 Depth=1
	s_or_b32 exec_lo, exec_lo, s28
.LBB11_3:                               ;   in Loop: Header=BB11_4 Depth=1
	s_delay_alu instid0(SALU_CYCLE_1) | instskip(SKIP_4) | instid1(VALU_DEP_4)
	s_or_b32 exec_lo, exec_lo, s3
	v_lshlrev_b64 v[0:1], 1, v[4:5]
	v_lshlrev_b64 v[9:10], 3, v[4:5]
	v_add_co_u32 v4, vcc_lo, v4, s46
	v_add_co_ci_u32_e32 v5, vcc_lo, 0, v5, vcc_lo
	v_add_co_u32 v0, vcc_lo, s20, v0
	v_add_co_ci_u32_e32 v1, vcc_lo, s21, v1, vcc_lo
	s_delay_alu instid0(VALU_DEP_3) | instskip(SKIP_1) | instid1(VALU_DEP_1)
	v_cmp_le_i64_e32 vcc_lo, s[16:17], v[4:5]
	v_add_co_u32 v9, s0, s22, v9
	v_add_co_ci_u32_e64 v10, s0, s23, v10, s0
	global_store_b16 v[0:1], v3, off
	global_store_b64 v[9:10], v[7:8], off
	s_or_b32 s47, vcc_lo, s47
	s_delay_alu instid0(SALU_CYCLE_1)
	s_and_not1_b32 exec_lo, exec_lo, s47
	s_cbranch_execz .LBB11_27
.LBB11_4:                               ; =>This Loop Header: Depth=1
                                        ;     Child Loop BB11_23 Depth 2
                                        ;       Child Loop BB11_25 Depth 3
	v_or_b32_e32 v3, s30, v5
                                        ; implicit-def: $vgpr6_vgpr7
	s_mov_b32 s0, exec_lo
	s_delay_alu instid0(VALU_DEP_1)
	v_cmpx_ne_u64_e32 0, v[2:3]
	s_xor_b32 s1, exec_lo, s0
	s_cbranch_execz .LBB11_6
; %bb.5:                                ;   in Loop: Header=BB11_4 Depth=1
	s_add_u32 s28, s5, s30
	s_mov_b32 s2, s30
	s_mov_b32 s3, s30
	s_addc_u32 s29, s30, s30
	s_delay_alu instid0(SALU_CYCLE_1) | instskip(NEXT) | instid1(SALU_CYCLE_1)
	s_xor_b64 s[28:29], s[28:29], s[2:3]
	v_cvt_f32_u32_e32 v0, s28
	v_cvt_f32_u32_e32 v1, s29
	s_sub_u32 s0, 0, s28
	s_subb_u32 s48, 0, s29
	s_delay_alu instid0(VALU_DEP_1) | instskip(NEXT) | instid1(VALU_DEP_1)
	v_fmac_f32_e32 v0, 0x4f800000, v1
	v_rcp_f32_e32 v0, v0
	s_waitcnt_depctr 0xfff
	v_mul_f32_e32 v0, 0x5f7ffffc, v0
	s_delay_alu instid0(VALU_DEP_1) | instskip(NEXT) | instid1(VALU_DEP_1)
	v_mul_f32_e32 v1, 0x2f800000, v0
	v_trunc_f32_e32 v1, v1
	s_delay_alu instid0(VALU_DEP_1) | instskip(SKIP_1) | instid1(VALU_DEP_2)
	v_fmac_f32_e32 v0, 0xcf800000, v1
	v_cvt_u32_f32_e32 v1, v1
	v_cvt_u32_f32_e32 v0, v0
	s_delay_alu instid0(VALU_DEP_2) | instskip(NEXT) | instid1(VALU_DEP_2)
	v_mul_lo_u32 v3, s0, v1
	v_mul_hi_u32 v6, s0, v0
	v_mul_lo_u32 v7, s48, v0
	s_delay_alu instid0(VALU_DEP_2) | instskip(SKIP_1) | instid1(VALU_DEP_2)
	v_add_nc_u32_e32 v3, v6, v3
	v_mul_lo_u32 v6, s0, v0
	v_add_nc_u32_e32 v3, v3, v7
	s_delay_alu instid0(VALU_DEP_2) | instskip(NEXT) | instid1(VALU_DEP_2)
	v_mul_hi_u32 v7, v0, v6
	v_mul_lo_u32 v8, v0, v3
	v_mul_hi_u32 v9, v0, v3
	v_mul_hi_u32 v10, v1, v6
	v_mul_lo_u32 v6, v1, v6
	v_mul_hi_u32 v11, v1, v3
	v_mul_lo_u32 v3, v1, v3
	v_add_co_u32 v7, vcc_lo, v7, v8
	v_add_co_ci_u32_e32 v8, vcc_lo, 0, v9, vcc_lo
	s_delay_alu instid0(VALU_DEP_2) | instskip(NEXT) | instid1(VALU_DEP_2)
	v_add_co_u32 v6, vcc_lo, v7, v6
	v_add_co_ci_u32_e32 v6, vcc_lo, v8, v10, vcc_lo
	v_add_co_ci_u32_e32 v7, vcc_lo, 0, v11, vcc_lo
	v_ashrrev_i32_e32 v10, 31, v5
	s_delay_alu instid0(VALU_DEP_3) | instskip(NEXT) | instid1(VALU_DEP_3)
	v_add_co_u32 v3, vcc_lo, v6, v3
	v_add_co_ci_u32_e32 v6, vcc_lo, 0, v7, vcc_lo
	s_delay_alu instid0(VALU_DEP_2) | instskip(NEXT) | instid1(VALU_DEP_2)
	v_add_co_u32 v0, vcc_lo, v0, v3
	v_add_co_ci_u32_e32 v1, vcc_lo, v1, v6, vcc_lo
	s_delay_alu instid0(VALU_DEP_2) | instskip(SKIP_1) | instid1(VALU_DEP_3)
	v_mul_hi_u32 v3, s0, v0
	v_mul_lo_u32 v7, s48, v0
	v_mul_lo_u32 v6, s0, v1
	s_delay_alu instid0(VALU_DEP_1) | instskip(SKIP_1) | instid1(VALU_DEP_2)
	v_add_nc_u32_e32 v3, v3, v6
	v_mul_lo_u32 v6, s0, v0
	v_add_nc_u32_e32 v3, v3, v7
	s_delay_alu instid0(VALU_DEP_2) | instskip(NEXT) | instid1(VALU_DEP_2)
	v_mul_hi_u32 v7, v0, v6
	v_mul_lo_u32 v8, v0, v3
	v_mul_hi_u32 v9, v0, v3
	v_mul_hi_u32 v11, v1, v6
	v_mul_lo_u32 v6, v1, v6
	v_mul_hi_u32 v12, v1, v3
	v_mul_lo_u32 v3, v1, v3
	v_add_co_u32 v7, vcc_lo, v7, v8
	v_add_co_ci_u32_e32 v8, vcc_lo, 0, v9, vcc_lo
	s_delay_alu instid0(VALU_DEP_2) | instskip(NEXT) | instid1(VALU_DEP_2)
	v_add_co_u32 v6, vcc_lo, v7, v6
	v_add_co_ci_u32_e32 v6, vcc_lo, v8, v11, vcc_lo
	v_add_co_ci_u32_e32 v7, vcc_lo, 0, v12, vcc_lo
	v_add_co_u32 v8, vcc_lo, v4, v10
	v_add_co_ci_u32_e32 v9, vcc_lo, v5, v10, vcc_lo
	s_delay_alu instid0(VALU_DEP_4) | instskip(NEXT) | instid1(VALU_DEP_4)
	v_add_co_u32 v3, vcc_lo, v6, v3
	v_add_co_ci_u32_e32 v6, vcc_lo, 0, v7, vcc_lo
	s_delay_alu instid0(VALU_DEP_4) | instskip(NEXT) | instid1(VALU_DEP_3)
	v_xor_b32_e32 v11, v8, v10
	v_add_co_u32 v3, vcc_lo, v0, v3
	s_delay_alu instid0(VALU_DEP_3) | instskip(SKIP_1) | instid1(VALU_DEP_3)
	v_add_co_ci_u32_e32 v12, vcc_lo, v1, v6, vcc_lo
	v_xor_b32_e32 v13, v9, v10
	v_mul_hi_u32 v14, v11, v3
	s_delay_alu instid0(VALU_DEP_3) | instskip(NEXT) | instid1(VALU_DEP_3)
	v_mad_u64_u32 v[0:1], null, v11, v12, 0
	v_mad_u64_u32 v[6:7], null, v13, v3, 0
	;; [unrolled: 1-line block ×3, first 2 shown]
	s_delay_alu instid0(VALU_DEP_3) | instskip(NEXT) | instid1(VALU_DEP_4)
	v_add_co_u32 v0, vcc_lo, v14, v0
	v_add_co_ci_u32_e32 v1, vcc_lo, 0, v1, vcc_lo
	s_delay_alu instid0(VALU_DEP_2) | instskip(NEXT) | instid1(VALU_DEP_2)
	v_add_co_u32 v0, vcc_lo, v0, v6
	v_add_co_ci_u32_e32 v0, vcc_lo, v1, v7, vcc_lo
	v_add_co_ci_u32_e32 v1, vcc_lo, 0, v9, vcc_lo
	s_delay_alu instid0(VALU_DEP_2) | instskip(NEXT) | instid1(VALU_DEP_2)
	v_add_co_u32 v3, vcc_lo, v0, v8
	v_add_co_ci_u32_e32 v6, vcc_lo, 0, v1, vcc_lo
	s_delay_alu instid0(VALU_DEP_2) | instskip(SKIP_1) | instid1(VALU_DEP_3)
	v_mul_lo_u32 v7, s29, v3
	v_mad_u64_u32 v[0:1], null, s28, v3, 0
	v_mul_lo_u32 v8, s28, v6
	s_delay_alu instid0(VALU_DEP_2) | instskip(NEXT) | instid1(VALU_DEP_2)
	v_sub_co_u32 v0, vcc_lo, v11, v0
	v_add3_u32 v1, v1, v8, v7
	s_delay_alu instid0(VALU_DEP_1) | instskip(NEXT) | instid1(VALU_DEP_1)
	v_sub_nc_u32_e32 v7, v13, v1
	v_subrev_co_ci_u32_e64 v7, s0, s29, v7, vcc_lo
	v_add_co_u32 v8, s0, v3, 2
	s_delay_alu instid0(VALU_DEP_1) | instskip(SKIP_3) | instid1(VALU_DEP_3)
	v_add_co_ci_u32_e64 v9, s0, 0, v6, s0
	v_sub_co_u32 v11, s0, v0, s28
	v_sub_co_ci_u32_e32 v1, vcc_lo, v13, v1, vcc_lo
	v_subrev_co_ci_u32_e64 v7, s0, 0, v7, s0
	v_cmp_le_u32_e32 vcc_lo, s28, v11
	s_delay_alu instid0(VALU_DEP_3) | instskip(SKIP_1) | instid1(VALU_DEP_4)
	v_cmp_eq_u32_e64 s0, s29, v1
	v_cndmask_b32_e64 v11, 0, -1, vcc_lo
	v_cmp_le_u32_e32 vcc_lo, s29, v7
	v_cndmask_b32_e64 v12, 0, -1, vcc_lo
	v_cmp_le_u32_e32 vcc_lo, s28, v0
	;; [unrolled: 2-line block ×3, first 2 shown]
	v_cndmask_b32_e64 v13, 0, -1, vcc_lo
	v_cmp_eq_u32_e32 vcc_lo, s29, v7
	s_delay_alu instid0(VALU_DEP_2) | instskip(SKIP_3) | instid1(VALU_DEP_3)
	v_cndmask_b32_e64 v0, v13, v0, s0
	v_cndmask_b32_e32 v7, v12, v11, vcc_lo
	v_add_co_u32 v11, vcc_lo, v3, 1
	v_add_co_ci_u32_e32 v12, vcc_lo, 0, v6, vcc_lo
	v_cmp_ne_u32_e32 vcc_lo, 0, v7
	s_delay_alu instid0(VALU_DEP_2) | instskip(NEXT) | instid1(VALU_DEP_4)
	v_cndmask_b32_e32 v1, v12, v9, vcc_lo
	v_cndmask_b32_e32 v7, v11, v8, vcc_lo
	v_cmp_ne_u32_e32 vcc_lo, 0, v0
	v_xor_b32_e32 v0, s2, v10
	s_delay_alu instid0(VALU_DEP_3) | instskip(SKIP_2) | instid1(VALU_DEP_3)
	v_cndmask_b32_e32 v3, v3, v7, vcc_lo
	v_cndmask_b32_e32 v1, v6, v1, vcc_lo
	v_xor_b32_e32 v7, s3, v10
	v_xor_b32_e32 v3, v3, v0
	s_delay_alu instid0(VALU_DEP_2) | instskip(NEXT) | instid1(VALU_DEP_2)
	v_xor_b32_e32 v1, v1, v7
	v_sub_co_u32 v6, vcc_lo, v3, v0
	s_delay_alu instid0(VALU_DEP_2)
	v_sub_co_ci_u32_e32 v7, vcc_lo, v1, v7, vcc_lo
.LBB11_6:                               ;   in Loop: Header=BB11_4 Depth=1
	s_and_not1_saveexec_b32 s0, s1
	s_cbranch_execz .LBB11_8
; %bb.7:                                ;   in Loop: Header=BB11_4 Depth=1
	s_sub_i32 s1, 0, s5
	v_mov_b32_e32 v7, v2
	v_mul_lo_u32 v0, s1, v18
	s_delay_alu instid0(VALU_DEP_1) | instskip(NEXT) | instid1(VALU_DEP_1)
	v_mul_hi_u32 v0, v18, v0
	v_add_nc_u32_e32 v0, v18, v0
	s_delay_alu instid0(VALU_DEP_1) | instskip(NEXT) | instid1(VALU_DEP_1)
	v_mul_hi_u32 v0, v4, v0
	v_mul_lo_u32 v1, v0, s5
	v_add_nc_u32_e32 v3, 1, v0
	s_delay_alu instid0(VALU_DEP_2) | instskip(NEXT) | instid1(VALU_DEP_1)
	v_sub_nc_u32_e32 v1, v4, v1
	v_subrev_nc_u32_e32 v6, s5, v1
	v_cmp_le_u32_e32 vcc_lo, s5, v1
	s_delay_alu instid0(VALU_DEP_2) | instskip(NEXT) | instid1(VALU_DEP_1)
	v_dual_cndmask_b32 v1, v1, v6 :: v_dual_cndmask_b32 v0, v0, v3
	v_cmp_le_u32_e32 vcc_lo, s5, v1
	s_delay_alu instid0(VALU_DEP_2) | instskip(NEXT) | instid1(VALU_DEP_1)
	v_add_nc_u32_e32 v3, 1, v0
	v_cndmask_b32_e32 v6, v0, v3, vcc_lo
.LBB11_8:                               ;   in Loop: Header=BB11_4 Depth=1
	s_or_b32 exec_lo, exec_lo, s0
	s_delay_alu instid0(VALU_DEP_1) | instskip(SKIP_1) | instid1(VALU_DEP_1)
	v_or_b32_e32 v3, s31, v7
                                        ; implicit-def: $vgpr0_vgpr1
	s_mov_b32 s0, exec_lo
	v_cmpx_ne_u64_e32 0, v[2:3]
	s_xor_b32 s1, exec_lo, s0
	s_cbranch_execz .LBB11_10
; %bb.9:                                ;   in Loop: Header=BB11_4 Depth=1
	s_add_u32 s28, s4, s31
	s_mov_b32 s2, s31
	s_mov_b32 s3, s31
	s_addc_u32 s29, s31, s31
	s_delay_alu instid0(SALU_CYCLE_1) | instskip(NEXT) | instid1(SALU_CYCLE_1)
	s_xor_b64 s[28:29], s[28:29], s[2:3]
	v_cvt_f32_u32_e32 v0, s28
	v_cvt_f32_u32_e32 v1, s29
	s_sub_u32 s0, 0, s28
	s_subb_u32 s48, 0, s29
	s_delay_alu instid0(VALU_DEP_1) | instskip(NEXT) | instid1(VALU_DEP_1)
	v_fmac_f32_e32 v0, 0x4f800000, v1
	v_rcp_f32_e32 v0, v0
	s_waitcnt_depctr 0xfff
	v_mul_f32_e32 v0, 0x5f7ffffc, v0
	s_delay_alu instid0(VALU_DEP_1) | instskip(NEXT) | instid1(VALU_DEP_1)
	v_mul_f32_e32 v1, 0x2f800000, v0
	v_trunc_f32_e32 v1, v1
	s_delay_alu instid0(VALU_DEP_1) | instskip(SKIP_1) | instid1(VALU_DEP_2)
	v_fmac_f32_e32 v0, 0xcf800000, v1
	v_cvt_u32_f32_e32 v1, v1
	v_cvt_u32_f32_e32 v0, v0
	s_delay_alu instid0(VALU_DEP_2) | instskip(NEXT) | instid1(VALU_DEP_2)
	v_mul_lo_u32 v3, s0, v1
	v_mul_hi_u32 v8, s0, v0
	v_mul_lo_u32 v9, s48, v0
	s_delay_alu instid0(VALU_DEP_2) | instskip(SKIP_1) | instid1(VALU_DEP_2)
	v_add_nc_u32_e32 v3, v8, v3
	v_mul_lo_u32 v8, s0, v0
	v_add_nc_u32_e32 v3, v3, v9
	s_delay_alu instid0(VALU_DEP_2) | instskip(NEXT) | instid1(VALU_DEP_2)
	v_mul_hi_u32 v9, v0, v8
	v_mul_lo_u32 v10, v0, v3
	v_mul_hi_u32 v11, v0, v3
	v_mul_hi_u32 v12, v1, v8
	v_mul_lo_u32 v8, v1, v8
	v_mul_hi_u32 v13, v1, v3
	v_mul_lo_u32 v3, v1, v3
	v_add_co_u32 v9, vcc_lo, v9, v10
	v_add_co_ci_u32_e32 v10, vcc_lo, 0, v11, vcc_lo
	s_delay_alu instid0(VALU_DEP_2) | instskip(NEXT) | instid1(VALU_DEP_2)
	v_add_co_u32 v8, vcc_lo, v9, v8
	v_add_co_ci_u32_e32 v8, vcc_lo, v10, v12, vcc_lo
	v_add_co_ci_u32_e32 v9, vcc_lo, 0, v13, vcc_lo
	v_ashrrev_i32_e32 v12, 31, v7
	s_delay_alu instid0(VALU_DEP_3) | instskip(NEXT) | instid1(VALU_DEP_3)
	v_add_co_u32 v3, vcc_lo, v8, v3
	v_add_co_ci_u32_e32 v8, vcc_lo, 0, v9, vcc_lo
	s_delay_alu instid0(VALU_DEP_2) | instskip(NEXT) | instid1(VALU_DEP_2)
	v_add_co_u32 v0, vcc_lo, v0, v3
	v_add_co_ci_u32_e32 v1, vcc_lo, v1, v8, vcc_lo
	s_delay_alu instid0(VALU_DEP_2) | instskip(SKIP_1) | instid1(VALU_DEP_3)
	v_mul_hi_u32 v3, s0, v0
	v_mul_lo_u32 v9, s48, v0
	v_mul_lo_u32 v8, s0, v1
	s_delay_alu instid0(VALU_DEP_1) | instskip(SKIP_1) | instid1(VALU_DEP_2)
	v_add_nc_u32_e32 v3, v3, v8
	v_mul_lo_u32 v8, s0, v0
	v_add_nc_u32_e32 v3, v3, v9
	s_delay_alu instid0(VALU_DEP_2) | instskip(NEXT) | instid1(VALU_DEP_2)
	v_mul_hi_u32 v9, v0, v8
	v_mul_lo_u32 v10, v0, v3
	v_mul_hi_u32 v11, v0, v3
	v_mul_hi_u32 v13, v1, v8
	v_mul_lo_u32 v8, v1, v8
	v_mul_hi_u32 v14, v1, v3
	v_mul_lo_u32 v3, v1, v3
	v_add_co_u32 v9, vcc_lo, v9, v10
	v_add_co_ci_u32_e32 v10, vcc_lo, 0, v11, vcc_lo
	s_delay_alu instid0(VALU_DEP_2) | instskip(NEXT) | instid1(VALU_DEP_2)
	v_add_co_u32 v8, vcc_lo, v9, v8
	v_add_co_ci_u32_e32 v8, vcc_lo, v10, v13, vcc_lo
	v_add_co_ci_u32_e32 v9, vcc_lo, 0, v14, vcc_lo
	v_add_co_u32 v10, vcc_lo, v6, v12
	v_add_co_ci_u32_e32 v11, vcc_lo, v7, v12, vcc_lo
	s_delay_alu instid0(VALU_DEP_4) | instskip(NEXT) | instid1(VALU_DEP_4)
	v_add_co_u32 v3, vcc_lo, v8, v3
	v_add_co_ci_u32_e32 v8, vcc_lo, 0, v9, vcc_lo
	s_delay_alu instid0(VALU_DEP_4) | instskip(NEXT) | instid1(VALU_DEP_3)
	v_xor_b32_e32 v13, v10, v12
	v_add_co_u32 v3, vcc_lo, v0, v3
	s_delay_alu instid0(VALU_DEP_3) | instskip(SKIP_1) | instid1(VALU_DEP_3)
	v_add_co_ci_u32_e32 v14, vcc_lo, v1, v8, vcc_lo
	v_xor_b32_e32 v15, v11, v12
	v_mul_hi_u32 v16, v13, v3
	s_delay_alu instid0(VALU_DEP_3) | instskip(NEXT) | instid1(VALU_DEP_3)
	v_mad_u64_u32 v[0:1], null, v13, v14, 0
	v_mad_u64_u32 v[8:9], null, v15, v3, 0
	v_mad_u64_u32 v[10:11], null, v15, v14, 0
	s_delay_alu instid0(VALU_DEP_3) | instskip(NEXT) | instid1(VALU_DEP_4)
	v_add_co_u32 v0, vcc_lo, v16, v0
	v_add_co_ci_u32_e32 v1, vcc_lo, 0, v1, vcc_lo
	s_delay_alu instid0(VALU_DEP_2) | instskip(NEXT) | instid1(VALU_DEP_2)
	v_add_co_u32 v0, vcc_lo, v0, v8
	v_add_co_ci_u32_e32 v0, vcc_lo, v1, v9, vcc_lo
	v_add_co_ci_u32_e32 v1, vcc_lo, 0, v11, vcc_lo
	s_delay_alu instid0(VALU_DEP_2) | instskip(NEXT) | instid1(VALU_DEP_2)
	v_add_co_u32 v3, vcc_lo, v0, v10
	v_add_co_ci_u32_e32 v8, vcc_lo, 0, v1, vcc_lo
	s_delay_alu instid0(VALU_DEP_2) | instskip(SKIP_1) | instid1(VALU_DEP_3)
	v_mul_lo_u32 v9, s29, v3
	v_mad_u64_u32 v[0:1], null, s28, v3, 0
	v_mul_lo_u32 v10, s28, v8
	s_delay_alu instid0(VALU_DEP_2) | instskip(NEXT) | instid1(VALU_DEP_2)
	v_sub_co_u32 v0, vcc_lo, v13, v0
	v_add3_u32 v1, v1, v10, v9
	s_delay_alu instid0(VALU_DEP_1) | instskip(NEXT) | instid1(VALU_DEP_1)
	v_sub_nc_u32_e32 v9, v15, v1
	v_subrev_co_ci_u32_e64 v9, s0, s29, v9, vcc_lo
	v_add_co_u32 v10, s0, v3, 2
	s_delay_alu instid0(VALU_DEP_1) | instskip(SKIP_3) | instid1(VALU_DEP_3)
	v_add_co_ci_u32_e64 v11, s0, 0, v8, s0
	v_sub_co_u32 v13, s0, v0, s28
	v_sub_co_ci_u32_e32 v1, vcc_lo, v15, v1, vcc_lo
	v_subrev_co_ci_u32_e64 v9, s0, 0, v9, s0
	v_cmp_le_u32_e32 vcc_lo, s28, v13
	s_delay_alu instid0(VALU_DEP_3) | instskip(SKIP_1) | instid1(VALU_DEP_4)
	v_cmp_eq_u32_e64 s0, s29, v1
	v_cndmask_b32_e64 v13, 0, -1, vcc_lo
	v_cmp_le_u32_e32 vcc_lo, s29, v9
	v_cndmask_b32_e64 v14, 0, -1, vcc_lo
	v_cmp_le_u32_e32 vcc_lo, s28, v0
	;; [unrolled: 2-line block ×3, first 2 shown]
	v_cndmask_b32_e64 v15, 0, -1, vcc_lo
	v_cmp_eq_u32_e32 vcc_lo, s29, v9
	s_delay_alu instid0(VALU_DEP_2) | instskip(SKIP_3) | instid1(VALU_DEP_3)
	v_cndmask_b32_e64 v0, v15, v0, s0
	v_cndmask_b32_e32 v9, v14, v13, vcc_lo
	v_add_co_u32 v13, vcc_lo, v3, 1
	v_add_co_ci_u32_e32 v14, vcc_lo, 0, v8, vcc_lo
	v_cmp_ne_u32_e32 vcc_lo, 0, v9
	s_delay_alu instid0(VALU_DEP_2) | instskip(NEXT) | instid1(VALU_DEP_4)
	v_cndmask_b32_e32 v1, v14, v11, vcc_lo
	v_cndmask_b32_e32 v9, v13, v10, vcc_lo
	v_cmp_ne_u32_e32 vcc_lo, 0, v0
	v_xor_b32_e32 v0, s2, v12
	s_delay_alu instid0(VALU_DEP_3) | instskip(SKIP_2) | instid1(VALU_DEP_3)
	v_cndmask_b32_e32 v3, v3, v9, vcc_lo
	v_cndmask_b32_e32 v1, v8, v1, vcc_lo
	v_xor_b32_e32 v8, s3, v12
	v_xor_b32_e32 v3, v3, v0
	s_delay_alu instid0(VALU_DEP_2) | instskip(NEXT) | instid1(VALU_DEP_2)
	v_xor_b32_e32 v1, v1, v8
	v_sub_co_u32 v0, vcc_lo, v3, v0
	s_delay_alu instid0(VALU_DEP_2)
	v_sub_co_ci_u32_e32 v1, vcc_lo, v1, v8, vcc_lo
.LBB11_10:                              ;   in Loop: Header=BB11_4 Depth=1
	s_and_not1_saveexec_b32 s0, s1
	s_cbranch_execz .LBB11_12
; %bb.11:                               ;   in Loop: Header=BB11_4 Depth=1
	v_cvt_f32_u32_e32 v0, s4
	s_sub_i32 s1, 0, s4
	s_delay_alu instid0(VALU_DEP_1) | instskip(SKIP_2) | instid1(VALU_DEP_1)
	v_rcp_iflag_f32_e32 v0, v0
	s_waitcnt_depctr 0xfff
	v_mul_f32_e32 v0, 0x4f7ffffe, v0
	v_cvt_u32_f32_e32 v0, v0
	s_delay_alu instid0(VALU_DEP_1) | instskip(NEXT) | instid1(VALU_DEP_1)
	v_mul_lo_u32 v1, s1, v0
	v_mul_hi_u32 v1, v0, v1
	s_delay_alu instid0(VALU_DEP_1) | instskip(NEXT) | instid1(VALU_DEP_1)
	v_add_nc_u32_e32 v0, v0, v1
	v_mul_hi_u32 v0, v6, v0
	s_delay_alu instid0(VALU_DEP_1) | instskip(SKIP_1) | instid1(VALU_DEP_2)
	v_mul_lo_u32 v1, v0, s4
	v_add_nc_u32_e32 v3, 1, v0
	v_sub_nc_u32_e32 v1, v6, v1
	s_delay_alu instid0(VALU_DEP_1) | instskip(SKIP_1) | instid1(VALU_DEP_2)
	v_subrev_nc_u32_e32 v8, s4, v1
	v_cmp_le_u32_e32 vcc_lo, s4, v1
	v_dual_cndmask_b32 v1, v1, v8 :: v_dual_cndmask_b32 v0, v0, v3
	s_delay_alu instid0(VALU_DEP_1) | instskip(NEXT) | instid1(VALU_DEP_2)
	v_cmp_le_u32_e32 vcc_lo, s4, v1
	v_add_nc_u32_e32 v3, 1, v0
	s_delay_alu instid0(VALU_DEP_1)
	v_dual_mov_b32 v1, v2 :: v_dual_cndmask_b32 v0, v0, v3
.LBB11_12:                              ;   in Loop: Header=BB11_4 Depth=1
	s_or_b32 exec_lo, exec_lo, s0
	s_delay_alu instid0(VALU_DEP_1) | instskip(NEXT) | instid1(VALU_DEP_2)
	v_mul_lo_u32 v3, v1, s4
	v_mul_lo_u32 v10, v0, s31
	v_mad_u64_u32 v[8:9], null, v0, s4, 0
	s_mov_b32 s0, exec_lo
	s_delay_alu instid0(VALU_DEP_1) | instskip(NEXT) | instid1(VALU_DEP_2)
	v_add3_u32 v3, v9, v10, v3
	v_sub_co_u32 v8, vcc_lo, v6, v8
	s_delay_alu instid0(VALU_DEP_2) | instskip(NEXT) | instid1(VALU_DEP_2)
	v_sub_co_ci_u32_e32 v3, vcc_lo, v7, v3, vcc_lo
	v_mul_lo_u32 v9, v8, s33
	v_mad_u64_u32 v[10:11], null, v8, s34, 0
	s_delay_alu instid0(VALU_DEP_3) | instskip(NEXT) | instid1(VALU_DEP_2)
	v_mul_lo_u32 v3, v3, s34
	v_sub_co_u32 v8, vcc_lo, v10, s36
	s_delay_alu instid0(VALU_DEP_2) | instskip(NEXT) | instid1(VALU_DEP_1)
	v_add3_u32 v11, v11, v9, v3
	v_subrev_co_ci_u32_e32 v9, vcc_lo, s35, v11, vcc_lo
	s_delay_alu instid0(VALU_DEP_1) | instskip(SKIP_1) | instid1(VALU_DEP_1)
	v_cmp_lt_i64_e32 vcc_lo, 0, v[8:9]
	v_dual_cndmask_b32 v3, 0, v9 :: v_dual_cndmask_b32 v12, 0, v8
	v_add_co_u32 v12, vcc_lo, v12, s36
	s_delay_alu instid0(VALU_DEP_2) | instskip(NEXT) | instid1(VALU_DEP_1)
	v_add_co_ci_u32_e32 v13, vcc_lo, s35, v3, vcc_lo
	v_cmp_ne_u64_e32 vcc_lo, v[12:13], v[10:11]
	v_cndmask_b32_e64 v14, 0, 1, vcc_lo
	s_delay_alu instid0(VALU_DEP_1) | instskip(SKIP_1) | instid1(VALU_DEP_2)
	v_add_co_u32 v3, vcc_lo, v10, v14
	v_add_co_ci_u32_e32 v10, vcc_lo, 0, v11, vcc_lo
	v_sub_co_u32 v12, vcc_lo, v12, v3
	s_delay_alu instid0(VALU_DEP_2) | instskip(NEXT) | instid1(VALU_DEP_1)
	v_sub_co_ci_u32_e32 v13, vcc_lo, v13, v10, vcc_lo
                                        ; implicit-def: $vgpr10_vgpr11
	v_or_b32_e32 v3, s43, v13
	s_delay_alu instid0(VALU_DEP_1)
	v_cmpx_ne_u64_e32 0, v[2:3]
	s_xor_b32 s1, exec_lo, s0
	s_cbranch_execz .LBB11_14
; %bb.13:                               ;   in Loop: Header=BB11_4 Depth=1
	v_cvt_f32_u32_e32 v3, s44
	v_cvt_f32_u32_e32 v10, s43
	s_sub_u32 s0, 0, s44
	s_subb_u32 s2, 0, s43
	s_delay_alu instid0(VALU_DEP_1) | instskip(NEXT) | instid1(VALU_DEP_1)
	v_fmac_f32_e32 v3, 0x4f800000, v10
	v_rcp_f32_e32 v3, v3
	s_waitcnt_depctr 0xfff
	v_mul_f32_e32 v3, 0x5f7ffffc, v3
	s_delay_alu instid0(VALU_DEP_1) | instskip(NEXT) | instid1(VALU_DEP_1)
	v_mul_f32_e32 v10, 0x2f800000, v3
	v_trunc_f32_e32 v10, v10
	s_delay_alu instid0(VALU_DEP_1) | instskip(SKIP_1) | instid1(VALU_DEP_2)
	v_fmac_f32_e32 v3, 0xcf800000, v10
	v_cvt_u32_f32_e32 v10, v10
	v_cvt_u32_f32_e32 v3, v3
	s_delay_alu instid0(VALU_DEP_2) | instskip(NEXT) | instid1(VALU_DEP_2)
	v_mul_lo_u32 v11, s0, v10
	v_mul_hi_u32 v15, s0, v3
	v_mul_lo_u32 v16, s2, v3
	s_delay_alu instid0(VALU_DEP_2) | instskip(SKIP_1) | instid1(VALU_DEP_2)
	v_add_nc_u32_e32 v11, v15, v11
	v_mul_lo_u32 v15, s0, v3
	v_add_nc_u32_e32 v11, v11, v16
	s_delay_alu instid0(VALU_DEP_2) | instskip(NEXT) | instid1(VALU_DEP_2)
	v_mul_hi_u32 v16, v3, v15
	v_mul_lo_u32 v17, v3, v11
	v_mul_hi_u32 v19, v3, v11
	v_mul_hi_u32 v20, v10, v15
	v_mul_lo_u32 v15, v10, v15
	v_mul_hi_u32 v21, v10, v11
	v_mul_lo_u32 v11, v10, v11
	v_add_co_u32 v16, vcc_lo, v16, v17
	v_add_co_ci_u32_e32 v17, vcc_lo, 0, v19, vcc_lo
	s_delay_alu instid0(VALU_DEP_2) | instskip(NEXT) | instid1(VALU_DEP_2)
	v_add_co_u32 v15, vcc_lo, v16, v15
	v_add_co_ci_u32_e32 v15, vcc_lo, v17, v20, vcc_lo
	v_add_co_ci_u32_e32 v16, vcc_lo, 0, v21, vcc_lo
	s_delay_alu instid0(VALU_DEP_2) | instskip(NEXT) | instid1(VALU_DEP_2)
	v_add_co_u32 v11, vcc_lo, v15, v11
	v_add_co_ci_u32_e32 v15, vcc_lo, 0, v16, vcc_lo
	s_delay_alu instid0(VALU_DEP_2) | instskip(NEXT) | instid1(VALU_DEP_2)
	v_add_co_u32 v3, vcc_lo, v3, v11
	v_add_co_ci_u32_e32 v10, vcc_lo, v10, v15, vcc_lo
	s_delay_alu instid0(VALU_DEP_2) | instskip(SKIP_1) | instid1(VALU_DEP_3)
	v_mul_hi_u32 v11, s0, v3
	v_mul_lo_u32 v16, s2, v3
	v_mul_lo_u32 v15, s0, v10
	s_delay_alu instid0(VALU_DEP_1) | instskip(SKIP_1) | instid1(VALU_DEP_2)
	v_add_nc_u32_e32 v11, v11, v15
	v_mul_lo_u32 v15, s0, v3
	v_add_nc_u32_e32 v11, v11, v16
	s_delay_alu instid0(VALU_DEP_2) | instskip(NEXT) | instid1(VALU_DEP_2)
	v_mul_hi_u32 v16, v3, v15
	v_mul_lo_u32 v17, v3, v11
	v_mul_hi_u32 v19, v3, v11
	v_mul_hi_u32 v20, v10, v15
	v_mul_lo_u32 v15, v10, v15
	v_mul_hi_u32 v21, v10, v11
	v_mul_lo_u32 v11, v10, v11
	v_add_co_u32 v16, vcc_lo, v16, v17
	v_add_co_ci_u32_e32 v17, vcc_lo, 0, v19, vcc_lo
	s_delay_alu instid0(VALU_DEP_2) | instskip(NEXT) | instid1(VALU_DEP_2)
	v_add_co_u32 v15, vcc_lo, v16, v15
	v_add_co_ci_u32_e32 v15, vcc_lo, v17, v20, vcc_lo
	v_add_co_ci_u32_e32 v16, vcc_lo, 0, v21, vcc_lo
	s_delay_alu instid0(VALU_DEP_2) | instskip(NEXT) | instid1(VALU_DEP_2)
	v_add_co_u32 v11, vcc_lo, v15, v11
	v_add_co_ci_u32_e32 v15, vcc_lo, 0, v16, vcc_lo
	s_delay_alu instid0(VALU_DEP_2) | instskip(NEXT) | instid1(VALU_DEP_2)
	v_add_co_u32 v3, vcc_lo, v3, v11
	v_add_co_ci_u32_e32 v17, vcc_lo, v10, v15, vcc_lo
	s_delay_alu instid0(VALU_DEP_2) | instskip(SKIP_1) | instid1(VALU_DEP_3)
	v_mul_hi_u32 v21, v12, v3
	v_mad_u64_u32 v[15:16], null, v13, v3, 0
	v_mad_u64_u32 v[10:11], null, v12, v17, 0
	;; [unrolled: 1-line block ×3, first 2 shown]
	s_delay_alu instid0(VALU_DEP_2) | instskip(NEXT) | instid1(VALU_DEP_3)
	v_add_co_u32 v3, vcc_lo, v21, v10
	v_add_co_ci_u32_e32 v10, vcc_lo, 0, v11, vcc_lo
	s_delay_alu instid0(VALU_DEP_2) | instskip(NEXT) | instid1(VALU_DEP_2)
	v_add_co_u32 v3, vcc_lo, v3, v15
	v_add_co_ci_u32_e32 v3, vcc_lo, v10, v16, vcc_lo
	v_add_co_ci_u32_e32 v10, vcc_lo, 0, v20, vcc_lo
	s_delay_alu instid0(VALU_DEP_2) | instskip(NEXT) | instid1(VALU_DEP_2)
	v_add_co_u32 v3, vcc_lo, v3, v19
	v_add_co_ci_u32_e32 v15, vcc_lo, 0, v10, vcc_lo
	s_delay_alu instid0(VALU_DEP_2) | instskip(SKIP_1) | instid1(VALU_DEP_3)
	v_mul_lo_u32 v16, s43, v3
	v_mad_u64_u32 v[10:11], null, s44, v3, 0
	v_mul_lo_u32 v17, s44, v15
	s_delay_alu instid0(VALU_DEP_2) | instskip(NEXT) | instid1(VALU_DEP_2)
	v_sub_co_u32 v10, vcc_lo, v12, v10
	v_add3_u32 v11, v11, v17, v16
	s_delay_alu instid0(VALU_DEP_1) | instskip(NEXT) | instid1(VALU_DEP_1)
	v_sub_nc_u32_e32 v16, v13, v11
	v_subrev_co_ci_u32_e64 v12, s0, s43, v16, vcc_lo
	v_add_co_u32 v16, s0, v3, 2
	s_delay_alu instid0(VALU_DEP_1) | instskip(SKIP_3) | instid1(VALU_DEP_3)
	v_add_co_ci_u32_e64 v17, s0, 0, v15, s0
	v_sub_co_u32 v19, s0, v10, s44
	v_sub_co_ci_u32_e32 v11, vcc_lo, v13, v11, vcc_lo
	v_subrev_co_ci_u32_e64 v12, s0, 0, v12, s0
	v_cmp_le_u32_e32 vcc_lo, s44, v19
	s_delay_alu instid0(VALU_DEP_3) | instskip(SKIP_1) | instid1(VALU_DEP_4)
	v_cmp_eq_u32_e64 s0, s43, v11
	v_cndmask_b32_e64 v13, 0, -1, vcc_lo
	v_cmp_le_u32_e32 vcc_lo, s43, v12
	v_cndmask_b32_e64 v19, 0, -1, vcc_lo
	v_cmp_le_u32_e32 vcc_lo, s44, v10
	;; [unrolled: 2-line block ×3, first 2 shown]
	v_cndmask_b32_e64 v20, 0, -1, vcc_lo
	v_cmp_eq_u32_e32 vcc_lo, s43, v12
	s_delay_alu instid0(VALU_DEP_2) | instskip(SKIP_3) | instid1(VALU_DEP_3)
	v_cndmask_b32_e64 v10, v20, v10, s0
	v_cndmask_b32_e32 v12, v19, v13, vcc_lo
	v_add_co_u32 v13, vcc_lo, v3, 1
	v_add_co_ci_u32_e32 v19, vcc_lo, 0, v15, vcc_lo
	v_cmp_ne_u32_e32 vcc_lo, 0, v12
	s_delay_alu instid0(VALU_DEP_2) | instskip(SKIP_1) | instid1(VALU_DEP_2)
	v_dual_cndmask_b32 v11, v19, v17 :: v_dual_cndmask_b32 v12, v13, v16
	v_cmp_ne_u32_e32 vcc_lo, 0, v10
	v_cndmask_b32_e32 v11, v15, v11, vcc_lo
	s_delay_alu instid0(VALU_DEP_3)
	v_cndmask_b32_e32 v10, v3, v12, vcc_lo
                                        ; implicit-def: $vgpr12
.LBB11_14:                              ;   in Loop: Header=BB11_4 Depth=1
	s_and_not1_saveexec_b32 s0, s1
	s_cbranch_execz .LBB11_16
; %bb.15:                               ;   in Loop: Header=BB11_4 Depth=1
	v_cvt_f32_u32_e32 v3, s44
	s_sub_i32 s1, 0, s44
	s_delay_alu instid0(VALU_DEP_1) | instskip(SKIP_2) | instid1(VALU_DEP_1)
	v_rcp_iflag_f32_e32 v3, v3
	s_waitcnt_depctr 0xfff
	v_mul_f32_e32 v3, 0x4f7ffffe, v3
	v_cvt_u32_f32_e32 v3, v3
	s_delay_alu instid0(VALU_DEP_1) | instskip(NEXT) | instid1(VALU_DEP_1)
	v_mul_lo_u32 v10, s1, v3
	v_mul_hi_u32 v10, v3, v10
	s_delay_alu instid0(VALU_DEP_1) | instskip(NEXT) | instid1(VALU_DEP_1)
	v_add_nc_u32_e32 v3, v3, v10
	v_mul_hi_u32 v3, v12, v3
	s_delay_alu instid0(VALU_DEP_1) | instskip(SKIP_1) | instid1(VALU_DEP_2)
	v_mul_lo_u32 v10, v3, s44
	v_add_nc_u32_e32 v11, 1, v3
	v_sub_nc_u32_e32 v10, v12, v10
	s_delay_alu instid0(VALU_DEP_1) | instskip(SKIP_1) | instid1(VALU_DEP_2)
	v_subrev_nc_u32_e32 v12, s44, v10
	v_cmp_le_u32_e32 vcc_lo, s44, v10
	v_dual_cndmask_b32 v10, v10, v12 :: v_dual_cndmask_b32 v3, v3, v11
	s_delay_alu instid0(VALU_DEP_1) | instskip(NEXT) | instid1(VALU_DEP_2)
	v_cmp_le_u32_e32 vcc_lo, s44, v10
	v_add_nc_u32_e32 v11, 1, v3
	s_delay_alu instid0(VALU_DEP_1)
	v_dual_cndmask_b32 v10, v3, v11 :: v_dual_mov_b32 v11, v2
.LBB11_16:                              ;   in Loop: Header=BB11_4 Depth=1
	s_or_b32 exec_lo, exec_lo, s0
	v_mul_lo_u32 v3, v7, s5
	v_mul_lo_u32 v7, v6, s30
	v_mad_u64_u32 v[12:13], null, v6, s5, 0
	s_mov_b32 s0, exec_lo
	s_delay_alu instid0(VALU_DEP_1) | instskip(NEXT) | instid1(VALU_DEP_2)
	v_add3_u32 v3, v13, v7, v3
	v_sub_co_u32 v6, vcc_lo, v4, v12
	s_delay_alu instid0(VALU_DEP_2) | instskip(NEXT) | instid1(VALU_DEP_2)
	v_sub_co_ci_u32_e32 v3, vcc_lo, v5, v3, vcc_lo
	v_mul_lo_u32 v7, v6, s37
	v_mad_u64_u32 v[12:13], null, v6, s38, 0
	s_delay_alu instid0(VALU_DEP_3) | instskip(NEXT) | instid1(VALU_DEP_2)
	v_mul_lo_u32 v3, v3, s38
	v_sub_co_u32 v6, vcc_lo, v12, s40
	s_delay_alu instid0(VALU_DEP_2) | instskip(NEXT) | instid1(VALU_DEP_1)
	v_add3_u32 v13, v13, v7, v3
	v_subrev_co_ci_u32_e32 v7, vcc_lo, s39, v13, vcc_lo
	s_delay_alu instid0(VALU_DEP_1) | instskip(SKIP_2) | instid1(VALU_DEP_2)
	v_cmp_lt_i64_e32 vcc_lo, 0, v[6:7]
	v_cndmask_b32_e32 v15, 0, v6, vcc_lo
	v_cndmask_b32_e32 v3, 0, v7, vcc_lo
	v_add_co_u32 v16, vcc_lo, v15, s40
	s_delay_alu instid0(VALU_DEP_2) | instskip(NEXT) | instid1(VALU_DEP_1)
	v_add_co_ci_u32_e32 v17, vcc_lo, s39, v3, vcc_lo
	v_cmp_ne_u64_e32 vcc_lo, v[16:17], v[12:13]
	v_cndmask_b32_e64 v15, 0, 1, vcc_lo
	s_delay_alu instid0(VALU_DEP_1) | instskip(SKIP_1) | instid1(VALU_DEP_2)
	v_add_co_u32 v3, vcc_lo, v12, v15
	v_add_co_ci_u32_e32 v12, vcc_lo, 0, v13, vcc_lo
	v_sub_co_u32 v16, vcc_lo, v16, v3
	s_delay_alu instid0(VALU_DEP_2) | instskip(NEXT) | instid1(VALU_DEP_1)
	v_sub_co_ci_u32_e32 v17, vcc_lo, v17, v12, vcc_lo
                                        ; implicit-def: $vgpr12_vgpr13
	v_or_b32_e32 v3, s45, v17
	s_delay_alu instid0(VALU_DEP_1)
	v_cmpx_ne_u64_e32 0, v[2:3]
	s_xor_b32 s1, exec_lo, s0
	s_cbranch_execz .LBB11_18
; %bb.17:                               ;   in Loop: Header=BB11_4 Depth=1
	v_cvt_f32_u32_e32 v3, s13
	v_cvt_f32_u32_e32 v12, s45
	s_sub_u32 s0, 0, s13
	s_subb_u32 s2, 0, s45
	s_delay_alu instid0(VALU_DEP_1) | instskip(NEXT) | instid1(VALU_DEP_1)
	v_fmac_f32_e32 v3, 0x4f800000, v12
	v_rcp_f32_e32 v3, v3
	s_waitcnt_depctr 0xfff
	v_mul_f32_e32 v3, 0x5f7ffffc, v3
	s_delay_alu instid0(VALU_DEP_1) | instskip(NEXT) | instid1(VALU_DEP_1)
	v_mul_f32_e32 v12, 0x2f800000, v3
	v_trunc_f32_e32 v12, v12
	s_delay_alu instid0(VALU_DEP_1) | instskip(SKIP_1) | instid1(VALU_DEP_2)
	v_fmac_f32_e32 v3, 0xcf800000, v12
	v_cvt_u32_f32_e32 v12, v12
	v_cvt_u32_f32_e32 v3, v3
	s_delay_alu instid0(VALU_DEP_2) | instskip(NEXT) | instid1(VALU_DEP_2)
	v_mul_lo_u32 v13, s0, v12
	v_mul_hi_u32 v19, s0, v3
	v_mul_lo_u32 v20, s2, v3
	s_delay_alu instid0(VALU_DEP_2) | instskip(SKIP_1) | instid1(VALU_DEP_2)
	v_add_nc_u32_e32 v13, v19, v13
	v_mul_lo_u32 v19, s0, v3
	v_add_nc_u32_e32 v13, v13, v20
	s_delay_alu instid0(VALU_DEP_2) | instskip(NEXT) | instid1(VALU_DEP_2)
	v_mul_hi_u32 v20, v3, v19
	v_mul_lo_u32 v21, v3, v13
	v_mul_hi_u32 v22, v3, v13
	v_mul_hi_u32 v23, v12, v19
	v_mul_lo_u32 v19, v12, v19
	v_mul_hi_u32 v24, v12, v13
	v_mul_lo_u32 v13, v12, v13
	v_add_co_u32 v20, vcc_lo, v20, v21
	v_add_co_ci_u32_e32 v21, vcc_lo, 0, v22, vcc_lo
	s_delay_alu instid0(VALU_DEP_2) | instskip(NEXT) | instid1(VALU_DEP_2)
	v_add_co_u32 v19, vcc_lo, v20, v19
	v_add_co_ci_u32_e32 v19, vcc_lo, v21, v23, vcc_lo
	v_add_co_ci_u32_e32 v20, vcc_lo, 0, v24, vcc_lo
	s_delay_alu instid0(VALU_DEP_2) | instskip(NEXT) | instid1(VALU_DEP_2)
	v_add_co_u32 v13, vcc_lo, v19, v13
	v_add_co_ci_u32_e32 v19, vcc_lo, 0, v20, vcc_lo
	s_delay_alu instid0(VALU_DEP_2) | instskip(NEXT) | instid1(VALU_DEP_2)
	v_add_co_u32 v3, vcc_lo, v3, v13
	v_add_co_ci_u32_e32 v12, vcc_lo, v12, v19, vcc_lo
	s_delay_alu instid0(VALU_DEP_2) | instskip(SKIP_1) | instid1(VALU_DEP_3)
	v_mul_hi_u32 v13, s0, v3
	v_mul_lo_u32 v20, s2, v3
	v_mul_lo_u32 v19, s0, v12
	s_delay_alu instid0(VALU_DEP_1) | instskip(SKIP_1) | instid1(VALU_DEP_2)
	v_add_nc_u32_e32 v13, v13, v19
	v_mul_lo_u32 v19, s0, v3
	v_add_nc_u32_e32 v13, v13, v20
	s_delay_alu instid0(VALU_DEP_2) | instskip(NEXT) | instid1(VALU_DEP_2)
	v_mul_hi_u32 v20, v3, v19
	v_mul_lo_u32 v21, v3, v13
	v_mul_hi_u32 v22, v3, v13
	v_mul_hi_u32 v23, v12, v19
	v_mul_lo_u32 v19, v12, v19
	v_mul_hi_u32 v24, v12, v13
	v_mul_lo_u32 v13, v12, v13
	v_add_co_u32 v20, vcc_lo, v20, v21
	v_add_co_ci_u32_e32 v21, vcc_lo, 0, v22, vcc_lo
	s_delay_alu instid0(VALU_DEP_2) | instskip(NEXT) | instid1(VALU_DEP_2)
	v_add_co_u32 v19, vcc_lo, v20, v19
	v_add_co_ci_u32_e32 v19, vcc_lo, v21, v23, vcc_lo
	v_add_co_ci_u32_e32 v20, vcc_lo, 0, v24, vcc_lo
	s_delay_alu instid0(VALU_DEP_2) | instskip(NEXT) | instid1(VALU_DEP_2)
	v_add_co_u32 v13, vcc_lo, v19, v13
	v_add_co_ci_u32_e32 v19, vcc_lo, 0, v20, vcc_lo
	s_delay_alu instid0(VALU_DEP_2) | instskip(NEXT) | instid1(VALU_DEP_2)
	v_add_co_u32 v3, vcc_lo, v3, v13
	v_add_co_ci_u32_e32 v23, vcc_lo, v12, v19, vcc_lo
	s_delay_alu instid0(VALU_DEP_2) | instskip(SKIP_1) | instid1(VALU_DEP_3)
	v_mul_hi_u32 v24, v16, v3
	v_mad_u64_u32 v[19:20], null, v17, v3, 0
	v_mad_u64_u32 v[12:13], null, v16, v23, 0
	;; [unrolled: 1-line block ×3, first 2 shown]
	s_delay_alu instid0(VALU_DEP_2) | instskip(NEXT) | instid1(VALU_DEP_3)
	v_add_co_u32 v3, vcc_lo, v24, v12
	v_add_co_ci_u32_e32 v12, vcc_lo, 0, v13, vcc_lo
	s_delay_alu instid0(VALU_DEP_2) | instskip(NEXT) | instid1(VALU_DEP_2)
	v_add_co_u32 v3, vcc_lo, v3, v19
	v_add_co_ci_u32_e32 v3, vcc_lo, v12, v20, vcc_lo
	v_add_co_ci_u32_e32 v12, vcc_lo, 0, v22, vcc_lo
	s_delay_alu instid0(VALU_DEP_2) | instskip(NEXT) | instid1(VALU_DEP_2)
	v_add_co_u32 v3, vcc_lo, v3, v21
	v_add_co_ci_u32_e32 v19, vcc_lo, 0, v12, vcc_lo
	s_delay_alu instid0(VALU_DEP_2) | instskip(SKIP_1) | instid1(VALU_DEP_3)
	v_mul_lo_u32 v20, s45, v3
	v_mad_u64_u32 v[12:13], null, s13, v3, 0
	v_mul_lo_u32 v21, s13, v19
	s_delay_alu instid0(VALU_DEP_2) | instskip(NEXT) | instid1(VALU_DEP_2)
	v_sub_co_u32 v12, vcc_lo, v16, v12
	v_add3_u32 v13, v13, v21, v20
	s_delay_alu instid0(VALU_DEP_1) | instskip(NEXT) | instid1(VALU_DEP_1)
	v_sub_nc_u32_e32 v20, v17, v13
	v_subrev_co_ci_u32_e64 v16, s0, s45, v20, vcc_lo
	v_add_co_u32 v20, s0, v3, 2
	s_delay_alu instid0(VALU_DEP_1) | instskip(SKIP_3) | instid1(VALU_DEP_3)
	v_add_co_ci_u32_e64 v21, s0, 0, v19, s0
	v_sub_co_u32 v22, s0, v12, s13
	v_sub_co_ci_u32_e32 v13, vcc_lo, v17, v13, vcc_lo
	v_subrev_co_ci_u32_e64 v16, s0, 0, v16, s0
	v_cmp_le_u32_e32 vcc_lo, s13, v22
	s_delay_alu instid0(VALU_DEP_3) | instskip(SKIP_1) | instid1(VALU_DEP_4)
	v_cmp_eq_u32_e64 s0, s45, v13
	v_cndmask_b32_e64 v17, 0, -1, vcc_lo
	v_cmp_le_u32_e32 vcc_lo, s45, v16
	v_cndmask_b32_e64 v22, 0, -1, vcc_lo
	v_cmp_le_u32_e32 vcc_lo, s13, v12
	;; [unrolled: 2-line block ×3, first 2 shown]
	v_cndmask_b32_e64 v23, 0, -1, vcc_lo
	v_cmp_eq_u32_e32 vcc_lo, s45, v16
	s_delay_alu instid0(VALU_DEP_2) | instskip(SKIP_3) | instid1(VALU_DEP_3)
	v_cndmask_b32_e64 v12, v23, v12, s0
	v_cndmask_b32_e32 v16, v22, v17, vcc_lo
	v_add_co_u32 v17, vcc_lo, v3, 1
	v_add_co_ci_u32_e32 v22, vcc_lo, 0, v19, vcc_lo
	v_cmp_ne_u32_e32 vcc_lo, 0, v16
	s_delay_alu instid0(VALU_DEP_2) | instskip(SKIP_1) | instid1(VALU_DEP_2)
	v_dual_cndmask_b32 v13, v22, v21 :: v_dual_cndmask_b32 v16, v17, v20
	v_cmp_ne_u32_e32 vcc_lo, 0, v12
	v_cndmask_b32_e32 v12, v3, v16, vcc_lo
	s_delay_alu instid0(VALU_DEP_3)
	v_cndmask_b32_e32 v13, v19, v13, vcc_lo
                                        ; implicit-def: $vgpr16
.LBB11_18:                              ;   in Loop: Header=BB11_4 Depth=1
	s_and_not1_saveexec_b32 s0, s1
	s_cbranch_execz .LBB11_20
; %bb.19:                               ;   in Loop: Header=BB11_4 Depth=1
	v_cvt_f32_u32_e32 v3, s13
	s_sub_i32 s1, 0, s13
	s_delay_alu instid0(VALU_DEP_1) | instskip(SKIP_2) | instid1(VALU_DEP_1)
	v_rcp_iflag_f32_e32 v3, v3
	s_waitcnt_depctr 0xfff
	v_mul_f32_e32 v3, 0x4f7ffffe, v3
	v_cvt_u32_f32_e32 v3, v3
	s_delay_alu instid0(VALU_DEP_1) | instskip(NEXT) | instid1(VALU_DEP_1)
	v_mul_lo_u32 v12, s1, v3
	v_mul_hi_u32 v12, v3, v12
	s_delay_alu instid0(VALU_DEP_1) | instskip(NEXT) | instid1(VALU_DEP_1)
	v_add_nc_u32_e32 v3, v3, v12
	v_mul_hi_u32 v3, v16, v3
	s_delay_alu instid0(VALU_DEP_1) | instskip(SKIP_1) | instid1(VALU_DEP_2)
	v_mul_lo_u32 v12, v3, s13
	v_add_nc_u32_e32 v13, 1, v3
	v_sub_nc_u32_e32 v12, v16, v12
	s_delay_alu instid0(VALU_DEP_1) | instskip(SKIP_1) | instid1(VALU_DEP_2)
	v_subrev_nc_u32_e32 v16, s13, v12
	v_cmp_le_u32_e32 vcc_lo, s13, v12
	v_dual_cndmask_b32 v12, v12, v16 :: v_dual_cndmask_b32 v3, v3, v13
	s_delay_alu instid0(VALU_DEP_1) | instskip(NEXT) | instid1(VALU_DEP_2)
	v_cmp_le_u32_e32 vcc_lo, s13, v12
	v_add_nc_u32_e32 v13, 1, v3
	s_delay_alu instid0(VALU_DEP_1)
	v_dual_cndmask_b32 v12, v3, v13 :: v_dual_mov_b32 v13, v2
.LBB11_20:                              ;   in Loop: Header=BB11_4 Depth=1
	s_or_b32 exec_lo, exec_lo, s0
	v_add_co_u32 v3, vcc_lo, v10, v14
	v_add_co_ci_u32_e32 v10, vcc_lo, 0, v11, vcc_lo
	s_delay_alu instid0(VALU_DEP_3) | instskip(SKIP_1) | instid1(VALU_DEP_4)
	v_add_co_u32 v15, vcc_lo, v12, v15
	v_add_co_ci_u32_e32 v12, vcc_lo, 0, v13, vcc_lo
	v_mul_lo_u32 v14, v3, s7
	s_delay_alu instid0(VALU_DEP_4)
	v_mul_lo_u32 v16, v10, s6
	v_mad_u64_u32 v[10:11], null, v3, s6, v[8:9]
	v_mul_lo_u32 v3, v15, s9
	v_mul_lo_u32 v9, v12, s8
	v_mad_u64_u32 v[12:13], null, v15, s8, v[6:7]
	s_mov_b32 s3, exec_lo
	s_delay_alu instid0(VALU_DEP_4) | instskip(NEXT) | instid1(VALU_DEP_2)
	v_add3_u32 v7, v16, v11, v14
	v_add3_u32 v13, v9, v13, v3
	v_add_nc_u32_e32 v3, s41, v8
	s_delay_alu instid0(VALU_DEP_3) | instskip(NEXT) | instid1(VALU_DEP_3)
	v_mul_lo_u32 v11, v7, s14
	v_mad_u64_u32 v[7:8], null, v10, s14, v[12:13]
	v_mul_lo_u32 v13, v10, s15
	s_delay_alu instid0(VALU_DEP_4) | instskip(SKIP_1) | instid1(VALU_DEP_3)
	v_min_i32_e32 v9, s12, v3
	v_mov_b32_e32 v3, 0xfffffc00
	v_add3_u32 v8, v11, v8, v13
	s_delay_alu instid0(VALU_DEP_3)
	v_cmpx_gt_i32_e64 v9, v10
	s_cbranch_execz .LBB11_3
; %bb.21:                               ;   in Loop: Header=BB11_4 Depth=1
	v_add_nc_u32_e32 v3, s42, v6
	v_mad_u64_u32 v[14:15], null, s10, v0, s[18:19]
	v_mul_lo_u32 v1, s10, v1
	v_mul_lo_u32 v11, s11, v0
	s_delay_alu instid0(VALU_DEP_4) | instskip(SKIP_3) | instid1(VALU_DEP_3)
	v_min_i32_e32 v6, s14, v3
	v_ashrrev_i32_e32 v0, 31, v10
	v_mov_b32_e32 v3, 0xfffffc00
	s_mov_b32 s28, 0
	v_cmp_gt_i32_e32 vcc_lo, v6, v12
	v_add3_u32 v15, v11, v15, v1
	s_branch .LBB11_23
.LBB11_22:                              ;   in Loop: Header=BB11_23 Depth=2
	s_or_b32 exec_lo, exec_lo, s29
	v_add_nc_u32_e32 v10, s24, v10
	s_delay_alu instid0(VALU_DEP_1) | instskip(SKIP_1) | instid1(VALU_DEP_2)
	v_cmp_ge_i32_e64 s0, v10, v9
	v_ashrrev_i32_e32 v0, 31, v10
	s_or_b32 s28, s0, s28
	s_delay_alu instid0(SALU_CYCLE_1)
	s_and_not1_b32 exec_lo, exec_lo, s28
	s_cbranch_execz .LBB11_2
.LBB11_23:                              ;   Parent Loop BB11_4 Depth=1
                                        ; =>  This Loop Header: Depth=2
                                        ;       Child Loop BB11_25 Depth 3
	s_and_saveexec_b32 s29, vcc_lo
	s_cbranch_execz .LBB11_22
; %bb.24:                               ;   in Loop: Header=BB11_23 Depth=2
	v_ashrrev_i32_e32 v13, 31, v12
	v_mul_lo_u32 v11, v10, s15
	v_mul_lo_u32 v16, v0, s14
	s_mov_b32 s48, 0
	s_delay_alu instid0(VALU_DEP_3) | instskip(NEXT) | instid1(VALU_DEP_1)
	v_mad_u64_u32 v[0:1], null, v10, s14, v[12:13]
	v_add3_u32 v1, v16, v1, v11
	v_mov_b32_e32 v11, v12
	s_delay_alu instid0(VALU_DEP_2) | instskip(NEXT) | instid1(VALU_DEP_1)
	v_lshlrev_b64 v[16:17], 1, v[0:1]
	v_add_co_u32 v16, s0, v14, v16
	s_delay_alu instid0(VALU_DEP_1)
	v_add_co_ci_u32_e64 v17, s0, v15, v17, s0
	.p2align	6
.LBB11_25:                              ;   Parent Loop BB11_4 Depth=1
                                        ;     Parent Loop BB11_23 Depth=2
                                        ; =>    This Inner Loop Header: Depth=3
	global_load_u16 v13, v[16:17], off
	v_add_nc_u32_e32 v11, s25, v11
	v_add_co_u32 v16, s0, v16, s26
	s_delay_alu instid0(VALU_DEP_1) | instskip(NEXT) | instid1(VALU_DEP_3)
	v_add_co_ci_u32_e64 v17, s0, s27, v17, s0
	v_cmp_ge_i32_e64 s0, v11, v6
	s_waitcnt vmcnt(0)
	v_cmp_gt_f16_e64 s1, v13, v3
	v_cmp_u_f16_e64 s2, v13, v13
	s_delay_alu instid0(VALU_DEP_1)
	s_or_b32 s1, s1, s2
	s_or_b32 s48, s0, s48
	v_cndmask_b32_e64 v3, v3, v13, s1
	v_cndmask_b32_e64 v8, v8, v1, s1
	;; [unrolled: 1-line block ×3, first 2 shown]
	v_add_co_u32 v0, s1, v0, s8
	s_delay_alu instid0(VALU_DEP_1)
	v_add_co_ci_u32_e64 v1, s1, s9, v1, s1
	s_and_not1_b32 exec_lo, exec_lo, s48
	s_cbranch_execnz .LBB11_25
; %bb.26:                               ;   in Loop: Header=BB11_23 Depth=2
	s_or_b32 exec_lo, exec_lo, s48
	s_branch .LBB11_22
.LBB11_27:
	s_nop 0
	s_sendmsg sendmsg(MSG_DEALLOC_VGPRS)
	s_endpgm
	.section	.rodata,"a",@progbits
	.p2align	6, 0x0
	.amdhsa_kernel _ZN2at6native12_GLOBAL__N_121max_pool_forward_nchwIN3c104HalfElEEvT0_PKT_llliiiiiiiiiiPS6_Pl
		.amdhsa_group_segment_fixed_size 0
		.amdhsa_private_segment_fixed_size 0
		.amdhsa_kernarg_size 352
		.amdhsa_user_sgpr_count 15
		.amdhsa_user_sgpr_dispatch_ptr 0
		.amdhsa_user_sgpr_queue_ptr 0
		.amdhsa_user_sgpr_kernarg_segment_ptr 1
		.amdhsa_user_sgpr_dispatch_id 0
		.amdhsa_user_sgpr_private_segment_size 0
		.amdhsa_wavefront_size32 1
		.amdhsa_uses_dynamic_stack 0
		.amdhsa_enable_private_segment 0
		.amdhsa_system_sgpr_workgroup_id_x 1
		.amdhsa_system_sgpr_workgroup_id_y 0
		.amdhsa_system_sgpr_workgroup_id_z 0
		.amdhsa_system_sgpr_workgroup_info 0
		.amdhsa_system_vgpr_workitem_id 0
		.amdhsa_next_free_vgpr 25
		.amdhsa_next_free_sgpr 49
		.amdhsa_reserve_vcc 1
		.amdhsa_float_round_mode_32 0
		.amdhsa_float_round_mode_16_64 0
		.amdhsa_float_denorm_mode_32 3
		.amdhsa_float_denorm_mode_16_64 3
		.amdhsa_dx10_clamp 1
		.amdhsa_ieee_mode 1
		.amdhsa_fp16_overflow 0
		.amdhsa_workgroup_processor_mode 1
		.amdhsa_memory_ordered 1
		.amdhsa_forward_progress 0
		.amdhsa_shared_vgpr_count 0
		.amdhsa_exception_fp_ieee_invalid_op 0
		.amdhsa_exception_fp_denorm_src 0
		.amdhsa_exception_fp_ieee_div_zero 0
		.amdhsa_exception_fp_ieee_overflow 0
		.amdhsa_exception_fp_ieee_underflow 0
		.amdhsa_exception_fp_ieee_inexact 0
		.amdhsa_exception_int_div_zero 0
	.end_amdhsa_kernel
	.section	.text._ZN2at6native12_GLOBAL__N_121max_pool_forward_nchwIN3c104HalfElEEvT0_PKT_llliiiiiiiiiiPS6_Pl,"axG",@progbits,_ZN2at6native12_GLOBAL__N_121max_pool_forward_nchwIN3c104HalfElEEvT0_PKT_llliiiiiiiiiiPS6_Pl,comdat
.Lfunc_end11:
	.size	_ZN2at6native12_GLOBAL__N_121max_pool_forward_nchwIN3c104HalfElEEvT0_PKT_llliiiiiiiiiiPS6_Pl, .Lfunc_end11-_ZN2at6native12_GLOBAL__N_121max_pool_forward_nchwIN3c104HalfElEEvT0_PKT_llliiiiiiiiiiPS6_Pl
                                        ; -- End function
	.section	.AMDGPU.csdata,"",@progbits
; Kernel info:
; codeLenInByte = 5084
; NumSgprs: 51
; NumVgprs: 25
; ScratchSize: 0
; MemoryBound: 0
; FloatMode: 240
; IeeeMode: 1
; LDSByteSize: 0 bytes/workgroup (compile time only)
; SGPRBlocks: 6
; VGPRBlocks: 3
; NumSGPRsForWavesPerEU: 51
; NumVGPRsForWavesPerEU: 25
; Occupancy: 16
; WaveLimiterHint : 0
; COMPUTE_PGM_RSRC2:SCRATCH_EN: 0
; COMPUTE_PGM_RSRC2:USER_SGPR: 15
; COMPUTE_PGM_RSRC2:TRAP_HANDLER: 0
; COMPUTE_PGM_RSRC2:TGID_X_EN: 1
; COMPUTE_PGM_RSRC2:TGID_Y_EN: 0
; COMPUTE_PGM_RSRC2:TGID_Z_EN: 0
; COMPUTE_PGM_RSRC2:TIDIG_COMP_CNT: 0
	.section	.text._ZN2at6native12_GLOBAL__N_121max_pool_forward_nhwcIN3c108BFloat16EiEEvPKT_iT0_S8_S8_S8_S8_iiiiiiiiS8_S8_S8_S8_iiPS5_Pl,"axG",@progbits,_ZN2at6native12_GLOBAL__N_121max_pool_forward_nhwcIN3c108BFloat16EiEEvPKT_iT0_S8_S8_S8_S8_iiiiiiiiS8_S8_S8_S8_iiPS5_Pl,comdat
	.globl	_ZN2at6native12_GLOBAL__N_121max_pool_forward_nhwcIN3c108BFloat16EiEEvPKT_iT0_S8_S8_S8_S8_iiiiiiiiS8_S8_S8_S8_iiPS5_Pl ; -- Begin function _ZN2at6native12_GLOBAL__N_121max_pool_forward_nhwcIN3c108BFloat16EiEEvPKT_iT0_S8_S8_S8_S8_iiiiiiiiS8_S8_S8_S8_iiPS5_Pl
	.p2align	8
	.type	_ZN2at6native12_GLOBAL__N_121max_pool_forward_nhwcIN3c108BFloat16EiEEvPKT_iT0_S8_S8_S8_S8_iiiiiiiiS8_S8_S8_S8_iiPS5_Pl,@function
_ZN2at6native12_GLOBAL__N_121max_pool_forward_nhwcIN3c108BFloat16EiEEvPKT_iT0_S8_S8_S8_S8_iiiiiiiiS8_S8_S8_S8_iiPS5_Pl: ; @_ZN2at6native12_GLOBAL__N_121max_pool_forward_nhwcIN3c108BFloat16EiEEvPKT_iT0_S8_S8_S8_S8_iiiiiiiiS8_S8_S8_S8_iiPS5_Pl
; %bb.0:
	s_clause 0x1
	s_load_b128 s[4:7], s[0:1], 0x6c
	s_load_b128 s[8:11], s[0:1], 0x48
	v_bfe_u32 v5, v0, 10, 10
	v_bfe_u32 v2, v0, 20, 10
	v_and_b32_e32 v6, 0x3ff, v0
	s_mov_b32 s3, exec_lo
	s_waitcnt lgkmcnt(0)
	s_lshr_b32 s33, s6, 16
	s_and_b32 s6, s6, 0xffff
	v_mad_u32_u24 v7, v2, s33, v5
	s_mul_i32 s35, s6, s11
	s_and_b32 s7, s7, 0xffff
	s_mul_i32 s2, s35, s33
	s_delay_alu instid0(SALU_CYCLE_1) | instskip(SKIP_1) | instid1(VALU_DEP_1)
	s_mul_i32 s2, s2, s7
	v_mad_u64_u32 v[0:1], null, v7, s6, v[6:7]
	v_cmpx_gt_u32_e64 s2, v0
	s_cbranch_execz .LBB12_3
; %bb.1:
	v_dual_mov_b32 v4, 0xffffff80 :: v_dual_lshlrev_b32 v3, 1, v0
	s_lshl_b32 s16, s2, 2
	s_mul_i32 s12, s33, s6
	v_lshl_add_u32 v1, v0, 2, 0
	s_delay_alu instid0(VALU_DEP_2)
	v_add3_u32 v3, 0, s16, v3
	v_mov_b32_e32 v8, 0
	s_mul_i32 s12, s12, s7
	s_mov_b32 s16, 0
	s_lshl_b32 s17, s12, 1
	s_lshl_b32 s18, s12, 2
.LBB12_2:                               ; =>This Inner Loop Header: Depth=1
	v_add_nc_u32_e32 v0, s12, v0
	ds_store_b16 v3, v4
	ds_store_b32 v1, v8
	v_add_nc_u32_e32 v3, s17, v3
	v_add_nc_u32_e32 v1, s18, v1
	v_cmp_le_u32_e32 vcc_lo, s2, v0
	s_or_b32 s16, vcc_lo, s16
	s_delay_alu instid0(SALU_CYCLE_1)
	s_and_not1_b32 exec_lo, exec_lo, s16
	s_cbranch_execnz .LBB12_2
.LBB12_3:
	s_or_b32 exec_lo, exec_lo, s3
	v_cvt_f32_u32_e32 v0, s5
	s_load_b512 s[16:31], s[0:1], 0x8
	s_sub_i32 s12, 0, s5
	s_waitcnt lgkmcnt(0)
	s_barrier
	v_rcp_iflag_f32_e32 v0, v0
	buffer_gl0_inv
	v_mul_f32_e32 v0, 0x4f7ffffe, v0
	s_delay_alu instid0(VALU_DEP_1) | instskip(SKIP_1) | instid1(SALU_CYCLE_1)
	v_cvt_u32_f32_e32 v0, v0
	s_add_i32 s34, s20, s5
	s_add_i32 s34, s34, -1
	s_delay_alu instid0(VALU_DEP_1) | instskip(SKIP_1) | instid1(VALU_DEP_2)
	v_readfirstlane_b32 s3, v0
	v_cvt_f32_u32_e32 v0, s16
	s_mul_i32 s12, s12, s3
	s_delay_alu instid0(VALU_DEP_1) | instskip(SKIP_3) | instid1(SALU_CYCLE_1)
	v_rcp_iflag_f32_e32 v3, v0
	s_mul_hi_u32 s12, s3, s12
	v_cvt_f32_u32_e32 v0, s4
	s_add_i32 s3, s3, s12
	s_mul_hi_u32 s3, s34, s3
	s_delay_alu instid0(VALU_DEP_1) | instskip(SKIP_1) | instid1(SALU_CYCLE_1)
	v_rcp_iflag_f32_e32 v4, v0
	s_mul_i32 s12, s3, s5
	s_sub_i32 s12, s34, s12
	s_add_i32 s34, s3, 1
	s_sub_i32 s36, s12, s5
	s_cmp_ge_u32 s12, s5
	s_cselect_b32 s3, s34, s3
	s_cselect_b32 s12, s36, s12
	s_add_i32 s34, s3, 1
	s_cmp_ge_u32 s12, s5
	s_mov_b32 s12, exec_lo
	s_cselect_b32 s3, s34, s3
	s_mov_b32 s34, 0
	s_waitcnt_depctr 0xfff
	v_mad_u64_u32 v[0:1], null, s3, s15, v[2:3]
	v_dual_mul_f32 v1, 0x4f7ffffe, v3 :: v_dual_mul_f32 v2, 0x4f7ffffe, v4
	s_delay_alu instid0(VALU_DEP_1) | instskip(NEXT) | instid1(VALU_DEP_3)
	v_cvt_u32_f32_e32 v1, v1
	v_add_nc_u32_e32 v3, s3, v0
	s_delay_alu instid0(VALU_DEP_3) | instskip(NEXT) | instid1(VALU_DEP_3)
	v_cvt_u32_f32_e32 v2, v2
	v_readfirstlane_b32 s5, v1
	s_delay_alu instid0(VALU_DEP_3) | instskip(NEXT) | instid1(VALU_DEP_3)
	v_min_i32_e32 v14, s20, v3
	v_readfirstlane_b32 s3, v2
	s_delay_alu instid0(VALU_DEP_2)
	v_cmpx_lt_i32_e64 v0, v14
	s_cbranch_execz .LBB12_74
; %bb.4:
	s_sub_i32 s12, 0, s16
	s_sub_i32 s36, 0, s4
	s_mul_i32 s12, s12, s5
	s_mul_i32 s36, s36, s3
	s_mul_hi_u32 s12, s5, s12
	s_lshl_b32 s2, s2, 2
	s_add_i32 s5, s5, s12
	s_mul_hi_u32 s12, s3, s36
	s_mul_hi_u32 s5, s13, s5
	s_add_i32 s3, s3, s12
	s_mul_i32 s12, s5, s16
	s_add_i32 s15, s21, s4
	s_add_i32 s42, s2, 0
	s_sub_i32 s2, s13, s12
	s_add_i32 s15, s15, -1
	s_add_i32 s12, s5, 1
	s_sub_i32 s36, s2, s16
	s_load_b64 s[40:41], s[0:1], 0x0
	s_cmp_ge_u32 s2, s16
	s_mul_hi_u32 s43, s15, s3
	s_cselect_b32 s5, s12, s5
	s_cselect_b32 s2, s36, s2
	s_load_b128 s[36:39], s[0:1], 0x58
	s_add_i32 s12, s5, 1
	s_cmp_ge_u32 s2, s16
	s_mul_i32 s3, s20, s17
	s_cselect_b32 s5, s12, s5
	s_mul_i32 s3, s3, s21
	s_mul_i32 s2, s5, s16
	s_mul_i32 s0, s43, s4
	s_sub_i32 s2, s13, s2
	v_mul_lo_u32 v11, s11, v7
	s_mul_i32 s12, s2, s30
	s_mul_i32 s2, s3, s2
	s_ashr_i32 s13, s12, 31
	s_ashr_i32 s3, s2, 31
	s_lshl_b64 s[12:13], s[12:13], 1
	v_dual_mov_b32 v28, 0xffffff80 :: v_dual_lshlrev_b32 v9, 1, v6
	s_waitcnt lgkmcnt(0)
	s_add_u32 s16, s40, s12
	s_addc_u32 s20, s41, s13
	s_sub_i32 s0, s15, s0
	s_add_i32 s1, s43, 1
	s_sub_i32 s12, s0, s4
	s_cmp_ge_u32 s0, s4
	v_mov_b32_e32 v21, 0
	s_cselect_b32 s1, s1, s43
	s_cselect_b32 s0, s12, s0
	s_add_i32 s12, s1, 1
	s_cmp_ge_u32 s0, s4
	s_cselect_b32 s0, s12, s1
	s_add_i32 s1, s22, -1
	s_max_i32 s4, s22, s23
	s_mul_i32 s30, s1, s28
	s_add_i32 s1, s23, -1
	s_add_i32 s30, s30, 1
	s_mul_i32 s1, s1, s29
	s_mul_i32 s12, s6, s10
	s_add_i32 s22, s1, 1
	s_cmp_lt_i32 s4, 4
	v_mad_u64_u32 v[3:4], null, s0, s14, v[5:6]
	s_cselect_b32 s1, -1, 0
	s_cmp_ge_u32 s12, s17
	s_cselect_b32 s4, -1, 0
	s_max_u32 s23, s28, 1
	s_lshl_b32 s40, s29, 1
	v_cvt_f32_u32_e32 v1, s23
	s_lshl_b32 s41, s6, 1
	s_delay_alu instid0(VALU_DEP_1)
	v_rcp_iflag_f32_e32 v8, v1
	v_mad_u64_u32 v[1:2], null, s5, s6, v[6:7]
	v_lshlrev_b32_e32 v10, 1, v7
	s_mul_i32 s5, s33, s7
	v_mul_lo_u32 v2, s35, v7
	v_lshlrev_b32_e32 v6, 2, v6
	s_and_b32 s35, s1, s4
	s_delay_alu instid0(VALU_DEP_4)
	v_mul_lo_u32 v4, v1, s31
	s_waitcnt_depctr 0xfff
	v_mul_f32_e32 v5, 0x4f7ffffe, v8
	v_lshl_add_u32 v7, s5, 2, v10
	v_add_nc_u32_e32 v8, s0, v3
	s_sub_i32 s0, 0, s23
	v_lshlrev_b32_e32 v12, 1, v2
	v_cvt_u32_f32_e32 v10, v5
	v_mul_lo_u32 v19, s11, v7
	v_ashrrev_i32_e32 v5, 31, v4
	v_min_i32_e32 v15, s21, v8
	v_lshlrev_b32_e32 v2, 2, v2
	v_mul_lo_u32 v13, s0, v10
	s_lshl_b64 s[4:5], s[2:3], 1
	v_lshlrev_b64 v[7:8], 1, v[4:5]
	v_add3_u32 v18, s42, v12, v9
	s_lshl_b32 s42, s6, 2
	s_add_u32 s4, s36, s4
	s_addc_u32 s5, s37, s5
	s_ashr_i32 s13, s12, 31
	v_mul_hi_u32 v5, v10, v13
	v_add_co_u32 v16, vcc_lo, s16, v7
	v_mul_lo_u32 v7, v11, s6
	v_add_co_ci_u32_e32 v17, vcc_lo, s20, v8, vcc_lo
	v_mul_lo_u32 v8, v19, s6
	v_add3_u32 v19, 0, v2, v6
	v_add_nc_u32_e32 v20, v10, v5
	v_ashrrev_i32_e32 v2, 31, v1
	s_lshl_b64 s[2:3], s[2:3], 3
	v_lshlrev_b32_e32 v5, 2, v7
	s_mul_i32 s31, s10, s31
	s_lshl_b64 s[10:11], s[12:13], 1
	v_add3_u32 v22, v8, v9, 0
	v_mad_u64_u32 v[7:8], null, s21, v0, v[3:4]
	v_add3_u32 v23, v5, v6, 0
	v_lshlrev_b64 v[5:6], 1, v[1:2]
	s_add_u32 s2, s38, s2
	s_addc_u32 s3, s39, s3
	v_cmp_gt_i32_e64 s0, s17, v1
	v_cmp_lt_i32_e64 s1, v3, v15
	v_mul_lo_u32 v26, s17, v7
	v_add_co_u32 v24, vcc_lo, s4, v5
	v_add_co_ci_u32_e32 v25, vcc_lo, s5, v6, vcc_lo
	v_lshlrev_b64 v[5:6], 3, v[1:2]
	s_mul_i32 s21, s21, s17
	s_mul_i32 s31, s31, s6
	;; [unrolled: 1-line block ×4, first 2 shown]
	s_lshl_b64 s[14:15], s[12:13], 3
	v_add_co_u32 v2, vcc_lo, s2, v5
	v_add_co_ci_u32_e32 v27, vcc_lo, s3, v6, vcc_lo
	s_branch .LBB12_6
.LBB12_5:                               ;   in Loop: Header=BB12_6 Depth=1
	s_or_b32 exec_lo, exec_lo, s13
	v_add_nc_u32_e32 v0, s7, v0
	v_add_nc_u32_e32 v26, s21, v26
	s_delay_alu instid0(VALU_DEP_2) | instskip(SKIP_1) | instid1(SALU_CYCLE_1)
	v_cmp_ge_i32_e32 vcc_lo, v0, v14
	s_or_b32 s34, vcc_lo, s34
	s_and_not1_b32 exec_lo, exec_lo, s34
	s_cbranch_execz .LBB12_74
.LBB12_6:                               ; =>This Loop Header: Depth=1
                                        ;     Child Loop BB12_9 Depth 2
                                        ;       Child Loop BB12_10 Depth 3
                                        ;       Child Loop BB12_63 Depth 3
                                        ;         Child Loop BB12_66 Depth 4
                                        ;           Child Loop BB12_69 Depth 5
                                        ;       Child Loop BB12_73 Depth 3
	s_and_saveexec_b32 s13, s1
	s_cbranch_execz .LBB12_5
; %bb.7:                                ;   in Loop: Header=BB12_6 Depth=1
	v_mul_lo_u32 v5, v0, s24
	v_mov_b32_e32 v30, v3
	s_mov_b32 s37, 0
	v_mov_b32_e32 v7, v26
	s_delay_alu instid0(VALU_DEP_3) | instskip(NEXT) | instid1(VALU_DEP_1)
	v_subrev_nc_u32_e32 v5, s26, v5
	v_add_nc_u32_e32 v6, s30, v5
	s_delay_alu instid0(VALU_DEP_1)
	v_min_i32_e32 v29, s18, v6
	s_branch .LBB12_9
.LBB12_8:                               ;   in Loop: Header=BB12_9 Depth=2
	s_or_b32 exec_lo, exec_lo, s3
	v_add_nc_u32_e32 v30, s33, v30
	v_add_nc_u32_e32 v7, s36, v7
	s_delay_alu instid0(VALU_DEP_2) | instskip(SKIP_1) | instid1(SALU_CYCLE_1)
	v_cmp_ge_i32_e32 vcc_lo, v30, v15
	s_or_b32 s37, vcc_lo, s37
	s_and_not1_b32 exec_lo, exec_lo, s37
	s_cbranch_execz .LBB12_5
.LBB12_9:                               ;   Parent Loop BB12_6 Depth=1
                                        ; =>  This Loop Header: Depth=2
                                        ;       Child Loop BB12_10 Depth 3
                                        ;       Child Loop BB12_63 Depth 3
                                        ;         Child Loop BB12_66 Depth 4
                                        ;           Child Loop BB12_69 Depth 5
                                        ;       Child Loop BB12_73 Depth 3
	v_mul_lo_u32 v6, v30, s25
	s_mov_b32 s2, 0
	s_waitcnt vmcnt(0)
	s_delay_alu instid0(VALU_DEP_1) | instskip(NEXT) | instid1(VALU_DEP_1)
	v_subrev_nc_u32_e32 v8, s27, v6
	v_mov_b32_e32 v32, v8
.LBB12_10:                              ;   Parent Loop BB12_6 Depth=1
                                        ;     Parent Loop BB12_9 Depth=2
                                        ; =>    This Inner Loop Header: Depth=3
	s_delay_alu instid0(VALU_DEP_1) | instskip(NEXT) | instid1(VALU_DEP_1)
	v_mov_b32_e32 v31, v32
	v_cmp_lt_i32_e32 vcc_lo, -1, v31
	v_add_nc_u32_e32 v32, s29, v31
	s_or_b32 s2, vcc_lo, s2
	s_delay_alu instid0(SALU_CYCLE_1)
	s_and_not1_b32 exec_lo, exec_lo, s2
	s_cbranch_execnz .LBB12_10
; %bb.11:                               ;   in Loop: Header=BB12_9 Depth=2
	s_or_b32 exec_lo, exec_lo, s2
	v_lshrrev_b32_e32 v6, 31, v5
	v_max_i32_e32 v9, 0, v5
	s_mov_b32 s3, -1
	s_delay_alu instid0(VALU_DEP_2) | instskip(NEXT) | instid1(VALU_DEP_1)
	v_add_nc_u32_e32 v10, v5, v6
	v_sub_nc_u32_e32 v9, v9, v10
	s_delay_alu instid0(VALU_DEP_1) | instskip(NEXT) | instid1(VALU_DEP_1)
	v_mul_hi_u32 v10, v9, v20
	v_mul_lo_u32 v11, v10, s23
	s_delay_alu instid0(VALU_DEP_1) | instskip(SKIP_1) | instid1(VALU_DEP_2)
	v_sub_nc_u32_e32 v9, v9, v11
	v_add_nc_u32_e32 v11, 1, v10
	v_subrev_nc_u32_e32 v12, s23, v9
	v_cmp_le_u32_e32 vcc_lo, s23, v9
	s_delay_alu instid0(VALU_DEP_2) | instskip(NEXT) | instid1(VALU_DEP_1)
	v_dual_cndmask_b32 v10, v10, v11 :: v_dual_cndmask_b32 v9, v9, v12
	v_add_nc_u32_e32 v11, 1, v10
	s_delay_alu instid0(VALU_DEP_2) | instskip(NEXT) | instid1(VALU_DEP_2)
	v_cmp_le_u32_e32 vcc_lo, s23, v9
	v_dual_mov_b32 v9, v5 :: v_dual_cndmask_b32 v10, v10, v11
	s_and_b32 vcc_lo, exec_lo, s35
	s_delay_alu instid0(VALU_DEP_1) | instskip(NEXT) | instid1(VALU_DEP_1)
	v_add_nc_u32_e32 v10, v6, v10
	v_mad_u64_u32 v[5:6], null, v10, s28, v[9:10]
	v_add_nc_u32_e32 v6, s22, v8
	s_delay_alu instid0(VALU_DEP_1) | instskip(NEXT) | instid1(VALU_DEP_3)
	v_min_i32_e32 v6, s19, v6
	v_cmp_lt_i32_e64 s2, v5, v29
	s_cbranch_vccnz .LBB12_14
; %bb.12:                               ;   in Loop: Header=BB12_9 Depth=2
	s_and_b32 vcc_lo, exec_lo, s3
	s_cbranch_vccnz .LBB12_60
.LBB12_13:                              ;   in Loop: Header=BB12_9 Depth=2
	s_and_saveexec_b32 s3, s0
	s_cbranch_execz .LBB12_8
	s_branch .LBB12_72
.LBB12_14:                              ;   in Loop: Header=BB12_9 Depth=2
	v_mul_lo_u32 v9, v5, s8
	v_mul_lo_u32 v8, v31, s9
	v_cmp_lt_i32_e32 vcc_lo, v31, v6
	v_mov_b32_e32 v34, 0
	v_mov_b32_e32 v38, 0
	v_ashrrev_i32_e32 v10, 31, v9
	s_delay_alu instid0(VALU_DEP_1) | instskip(SKIP_1) | instid1(VALU_DEP_2)
	v_lshlrev_b64 v[10:11], 1, v[9:10]
	v_ashrrev_i32_e32 v9, 31, v8
	v_add_co_u32 v36, s3, v16, v10
	s_delay_alu instid0(VALU_DEP_1) | instskip(SKIP_1) | instid1(SALU_CYCLE_1)
	v_add_co_ci_u32_e64 v37, s3, v17, v11, s3
	s_and_b32 s3, s2, vcc_lo
	s_and_b32 s38, s0, s3
	s_delay_alu instid0(SALU_CYCLE_1)
	s_and_saveexec_b32 s4, s38
	s_cbranch_execz .LBB12_16
; %bb.15:                               ;   in Loop: Header=BB12_9 Depth=2
	v_lshlrev_b64 v[10:11], 1, v[8:9]
	s_delay_alu instid0(VALU_DEP_1) | instskip(NEXT) | instid1(VALU_DEP_1)
	v_add_co_u32 v10, s3, v36, v10
	v_add_co_ci_u32_e64 v11, s3, v37, v11, s3
	global_load_u16 v38, v[10:11], off
.LBB12_16:                              ;   in Loop: Header=BB12_9 Depth=2
	s_or_b32 exec_lo, exec_lo, s4
	v_mul_lo_u32 v10, v32, s9
	v_cmp_lt_i32_e64 s3, v32, v6
	s_delay_alu instid0(VALU_DEP_1) | instskip(NEXT) | instid1(SALU_CYCLE_1)
	s_and_b32 s4, s2, s3
	s_and_b32 s39, s0, s4
	s_delay_alu instid0(VALU_DEP_2)
	v_ashrrev_i32_e32 v11, 31, v10
	s_and_saveexec_b32 s5, s39
	s_cbranch_execz .LBB12_18
; %bb.17:                               ;   in Loop: Header=BB12_9 Depth=2
	s_delay_alu instid0(VALU_DEP_1) | instskip(NEXT) | instid1(VALU_DEP_1)
	v_lshlrev_b64 v[12:13], 1, v[10:11]
	v_add_co_u32 v12, s4, v36, v12
	s_delay_alu instid0(VALU_DEP_1)
	v_add_co_ci_u32_e64 v13, s4, v37, v13, s4
	global_load_u16 v34, v[12:13], off
.LBB12_18:                              ;   in Loop: Header=BB12_9 Depth=2
	s_or_b32 exec_lo, exec_lo, s5
	v_add_nc_u32_e32 v33, s40, v31
	v_mov_b32_e32 v35, 0
	v_mov_b32_e32 v39, 0
	s_delay_alu instid0(VALU_DEP_3) | instskip(SKIP_1) | instid1(VALU_DEP_1)
	v_mul_lo_u32 v12, v33, s9
	v_cmp_lt_i32_e64 s4, v33, v6
	s_and_b32 s5, s2, s4
	s_delay_alu instid0(SALU_CYCLE_1) | instskip(NEXT) | instid1(VALU_DEP_2)
	s_and_b32 s43, s0, s5
	v_ashrrev_i32_e32 v13, 31, v12
	s_and_saveexec_b32 s6, s43
	s_cbranch_execz .LBB12_20
; %bb.19:                               ;   in Loop: Header=BB12_9 Depth=2
	s_delay_alu instid0(VALU_DEP_1) | instskip(NEXT) | instid1(VALU_DEP_1)
	v_lshlrev_b64 v[39:40], 1, v[12:13]
	v_add_co_u32 v36, s5, v36, v39
	s_delay_alu instid0(VALU_DEP_1)
	v_add_co_ci_u32_e64 v37, s5, v37, v40, s5
	global_load_u16 v39, v[36:37], off
.LBB12_20:                              ;   in Loop: Header=BB12_9 Depth=2
	s_or_b32 exec_lo, exec_lo, s6
	v_add_nc_u32_e32 v41, s28, v5
	s_delay_alu instid0(VALU_DEP_1) | instskip(SKIP_1) | instid1(VALU_DEP_2)
	v_mul_lo_u32 v36, v41, s8
	v_cmp_lt_i32_e64 s5, v41, v29
	v_ashrrev_i32_e32 v37, 31, v36
	s_delay_alu instid0(VALU_DEP_1) | instskip(NEXT) | instid1(VALU_DEP_1)
	v_lshlrev_b64 v[42:43], 1, v[36:37]
	v_add_co_u32 v37, s6, v16, v42
	s_delay_alu instid0(VALU_DEP_1) | instskip(SKIP_1) | instid1(SALU_CYCLE_1)
	v_add_co_ci_u32_e64 v42, s6, v17, v43, s6
	s_and_b32 s6, s5, vcc_lo
	s_and_b32 s45, s0, s6
	s_delay_alu instid0(SALU_CYCLE_1)
	s_and_saveexec_b32 s44, s45
	s_cbranch_execz .LBB12_22
; %bb.21:                               ;   in Loop: Header=BB12_9 Depth=2
	v_lshlrev_b64 v[35:36], 1, v[8:9]
	s_delay_alu instid0(VALU_DEP_1) | instskip(NEXT) | instid1(VALU_DEP_1)
	v_add_co_u32 v35, s6, v37, v35
	v_add_co_ci_u32_e64 v36, s6, v42, v36, s6
	global_load_u16 v35, v[35:36], off
.LBB12_22:                              ;   in Loop: Header=BB12_9 Depth=2
	s_or_b32 exec_lo, exec_lo, s44
	v_mov_b32_e32 v36, 0
	v_mov_b32_e32 v40, 0
	s_and_b32 s6, s5, s3
	s_delay_alu instid0(SALU_CYCLE_1) | instskip(NEXT) | instid1(SALU_CYCLE_1)
	s_and_b32 s46, s0, s6
	s_and_saveexec_b32 s44, s46
	s_cbranch_execz .LBB12_24
; %bb.23:                               ;   in Loop: Header=BB12_9 Depth=2
	v_lshlrev_b64 v[43:44], 1, v[10:11]
	s_delay_alu instid0(VALU_DEP_1) | instskip(NEXT) | instid1(VALU_DEP_1)
	v_add_co_u32 v43, s6, v37, v43
	v_add_co_ci_u32_e64 v44, s6, v42, v44, s6
	global_load_u16 v40, v[43:44], off
.LBB12_24:                              ;   in Loop: Header=BB12_9 Depth=2
	s_or_b32 exec_lo, exec_lo, s44
	s_and_b32 s5, s5, s4
	s_delay_alu instid0(SALU_CYCLE_1) | instskip(NEXT) | instid1(SALU_CYCLE_1)
	s_and_b32 s44, s0, s5
	s_and_saveexec_b32 s6, s44
	s_cbranch_execz .LBB12_26
; %bb.25:                               ;   in Loop: Header=BB12_9 Depth=2
	v_lshlrev_b64 v[43:44], 1, v[12:13]
	s_delay_alu instid0(VALU_DEP_1) | instskip(NEXT) | instid1(VALU_DEP_1)
	v_add_co_u32 v36, s5, v37, v43
	v_add_co_ci_u32_e64 v37, s5, v42, v44, s5
	global_load_u16 v36, v[36:37], off
.LBB12_26:                              ;   in Loop: Header=BB12_9 Depth=2
	s_or_b32 exec_lo, exec_lo, s6
	v_dual_mov_b32 v37, 0 :: v_dual_add_nc_u32 v42, s28, v41
	s_delay_alu instid0(VALU_DEP_1) | instskip(SKIP_1) | instid1(VALU_DEP_2)
	v_mul_lo_u32 v43, v42, s8
	v_cmp_lt_i32_e64 s5, v42, v29
	v_ashrrev_i32_e32 v44, 31, v43
	s_delay_alu instid0(VALU_DEP_1) | instskip(SKIP_1) | instid1(VALU_DEP_2)
	v_lshlrev_b64 v[44:45], 1, v[43:44]
	v_mov_b32_e32 v43, 0
	v_add_co_u32 v44, s6, v16, v44
	s_delay_alu instid0(VALU_DEP_1) | instskip(SKIP_1) | instid1(SALU_CYCLE_1)
	v_add_co_ci_u32_e64 v45, s6, v17, v45, s6
	s_and_b32 s6, s5, vcc_lo
	s_and_b32 s47, s0, s6
	s_delay_alu instid0(SALU_CYCLE_1)
	s_and_saveexec_b32 s6, s47
	s_cbranch_execz .LBB12_28
; %bb.27:                               ;   in Loop: Header=BB12_9 Depth=2
	v_lshlrev_b64 v[8:9], 1, v[8:9]
	s_delay_alu instid0(VALU_DEP_1) | instskip(NEXT) | instid1(VALU_DEP_2)
	v_add_co_u32 v8, vcc_lo, v44, v8
	v_add_co_ci_u32_e32 v9, vcc_lo, v45, v9, vcc_lo
	global_load_u16 v43, v[8:9], off
.LBB12_28:                              ;   in Loop: Header=BB12_9 Depth=2
	s_or_b32 exec_lo, exec_lo, s6
	s_and_b32 s3, s5, s3
	s_delay_alu instid0(SALU_CYCLE_1) | instskip(NEXT) | instid1(SALU_CYCLE_1)
	s_and_b32 s6, s0, s3
	s_and_saveexec_b32 s3, s6
	s_cbranch_execz .LBB12_30
; %bb.29:                               ;   in Loop: Header=BB12_9 Depth=2
	v_lshlrev_b64 v[8:9], 1, v[10:11]
	s_delay_alu instid0(VALU_DEP_1) | instskip(NEXT) | instid1(VALU_DEP_2)
	v_add_co_u32 v8, vcc_lo, v44, v8
	v_add_co_ci_u32_e32 v9, vcc_lo, v45, v9, vcc_lo
	global_load_u16 v37, v[8:9], off
.LBB12_30:                              ;   in Loop: Header=BB12_9 Depth=2
	s_or_b32 exec_lo, exec_lo, s3
	v_mov_b32_e32 v8, 0
	s_and_b32 s3, s5, s4
	s_delay_alu instid0(SALU_CYCLE_1) | instskip(NEXT) | instid1(SALU_CYCLE_1)
	s_and_b32 s4, s0, s3
	s_and_saveexec_b32 s3, s4
	s_cbranch_execz .LBB12_32
; %bb.31:                               ;   in Loop: Header=BB12_9 Depth=2
	v_lshlrev_b64 v[8:9], 1, v[12:13]
	s_delay_alu instid0(VALU_DEP_1) | instskip(NEXT) | instid1(VALU_DEP_2)
	v_add_co_u32 v8, vcc_lo, v44, v8
	v_add_co_ci_u32_e32 v9, vcc_lo, v45, v9, vcc_lo
	global_load_u16 v8, v[8:9], off
.LBB12_32:                              ;   in Loop: Header=BB12_9 Depth=2
	s_or_b32 exec_lo, exec_lo, s3
	v_mul_lo_u32 v9, v5, s19
	s_and_saveexec_b32 s5, s38
	s_cbranch_execz .LBB12_35
; %bb.33:                               ;   in Loop: Header=BB12_9 Depth=2
	ds_load_u16 v10, v18
	s_waitcnt vmcnt(0)
	v_lshlrev_b32_e32 v11, 16, v38
	s_delay_alu instid0(VALU_DEP_1) | instskip(SKIP_2) | instid1(VALU_DEP_1)
	v_cmp_u_f32_e64 s3, v11, v11
	s_waitcnt lgkmcnt(0)
	v_lshlrev_b32_e32 v10, 16, v10
	v_cmp_gt_f32_e32 vcc_lo, v11, v10
	s_delay_alu instid0(VALU_DEP_3) | instskip(NEXT) | instid1(SALU_CYCLE_1)
	s_or_b32 s3, s3, vcc_lo
	s_and_b32 exec_lo, exec_lo, s3
	s_cbranch_execz .LBB12_35
; %bb.34:                               ;   in Loop: Header=BB12_9 Depth=2
	v_add_nc_u32_e32 v10, v31, v9
	ds_store_b16 v18, v38
	ds_store_b32 v19, v10
.LBB12_35:                              ;   in Loop: Header=BB12_9 Depth=2
	s_or_b32 exec_lo, exec_lo, s5
	s_and_saveexec_b32 s5, s39
	s_cbranch_execz .LBB12_38
; %bb.36:                               ;   in Loop: Header=BB12_9 Depth=2
	ds_load_u16 v10, v18
	s_waitcnt vmcnt(0)
	v_lshlrev_b32_e32 v11, 16, v34
	s_delay_alu instid0(VALU_DEP_1) | instskip(SKIP_2) | instid1(VALU_DEP_1)
	v_cmp_u_f32_e64 s3, v11, v11
	s_waitcnt lgkmcnt(0)
	v_lshlrev_b32_e32 v10, 16, v10
	v_cmp_gt_f32_e32 vcc_lo, v11, v10
	s_delay_alu instid0(VALU_DEP_3) | instskip(NEXT) | instid1(SALU_CYCLE_1)
	s_or_b32 s3, s3, vcc_lo
	s_and_b32 exec_lo, exec_lo, s3
	s_cbranch_execz .LBB12_38
; %bb.37:                               ;   in Loop: Header=BB12_9 Depth=2
	v_add_nc_u32_e32 v10, v32, v9
	ds_store_b16 v18, v34
	ds_store_b32 v19, v10
.LBB12_38:                              ;   in Loop: Header=BB12_9 Depth=2
	s_or_b32 exec_lo, exec_lo, s5
	s_and_saveexec_b32 s5, s43
	s_cbranch_execz .LBB12_41
; %bb.39:                               ;   in Loop: Header=BB12_9 Depth=2
	ds_load_u16 v10, v18
	s_waitcnt vmcnt(0)
	v_lshlrev_b32_e32 v11, 16, v39
	s_delay_alu instid0(VALU_DEP_1) | instskip(SKIP_2) | instid1(VALU_DEP_1)
	v_cmp_u_f32_e64 s3, v11, v11
	s_waitcnt lgkmcnt(0)
	v_lshlrev_b32_e32 v10, 16, v10
	v_cmp_gt_f32_e32 vcc_lo, v11, v10
	s_delay_alu instid0(VALU_DEP_3) | instskip(NEXT) | instid1(SALU_CYCLE_1)
	s_or_b32 s3, s3, vcc_lo
	s_and_b32 exec_lo, exec_lo, s3
	s_cbranch_execz .LBB12_41
; %bb.40:                               ;   in Loop: Header=BB12_9 Depth=2
	v_add_nc_u32_e32 v9, v33, v9
	ds_store_b16 v18, v39
	ds_store_b32 v19, v9
.LBB12_41:                              ;   in Loop: Header=BB12_9 Depth=2
	s_or_b32 exec_lo, exec_lo, s5
	v_mul_lo_u32 v9, v41, s19
	s_and_saveexec_b32 s5, s45
	s_cbranch_execz .LBB12_44
; %bb.42:                               ;   in Loop: Header=BB12_9 Depth=2
	ds_load_u16 v10, v18
	s_waitcnt vmcnt(0)
	v_lshlrev_b32_e32 v11, 16, v35
	s_delay_alu instid0(VALU_DEP_1) | instskip(SKIP_2) | instid1(VALU_DEP_1)
	v_cmp_u_f32_e64 s3, v11, v11
	s_waitcnt lgkmcnt(0)
	v_lshlrev_b32_e32 v10, 16, v10
	v_cmp_gt_f32_e32 vcc_lo, v11, v10
	s_delay_alu instid0(VALU_DEP_3) | instskip(NEXT) | instid1(SALU_CYCLE_1)
	s_or_b32 s3, s3, vcc_lo
	s_and_b32 exec_lo, exec_lo, s3
	s_cbranch_execz .LBB12_44
; %bb.43:                               ;   in Loop: Header=BB12_9 Depth=2
	v_add_nc_u32_e32 v10, v31, v9
	ds_store_b16 v18, v35
	ds_store_b32 v19, v10
.LBB12_44:                              ;   in Loop: Header=BB12_9 Depth=2
	s_or_b32 exec_lo, exec_lo, s5
	s_and_saveexec_b32 s5, s46
	s_cbranch_execz .LBB12_47
; %bb.45:                               ;   in Loop: Header=BB12_9 Depth=2
	ds_load_u16 v10, v18
	s_waitcnt vmcnt(0)
	v_lshlrev_b32_e32 v11, 16, v40
	s_delay_alu instid0(VALU_DEP_1) | instskip(SKIP_2) | instid1(VALU_DEP_1)
	v_cmp_u_f32_e64 s3, v11, v11
	s_waitcnt lgkmcnt(0)
	v_lshlrev_b32_e32 v10, 16, v10
	v_cmp_gt_f32_e32 vcc_lo, v11, v10
	s_delay_alu instid0(VALU_DEP_3) | instskip(NEXT) | instid1(SALU_CYCLE_1)
	s_or_b32 s3, s3, vcc_lo
	s_and_b32 exec_lo, exec_lo, s3
	s_cbranch_execz .LBB12_47
; %bb.46:                               ;   in Loop: Header=BB12_9 Depth=2
	v_add_nc_u32_e32 v10, v32, v9
	ds_store_b16 v18, v40
	ds_store_b32 v19, v10
.LBB12_47:                              ;   in Loop: Header=BB12_9 Depth=2
	s_or_b32 exec_lo, exec_lo, s5
	s_and_saveexec_b32 s5, s44
	s_cbranch_execz .LBB12_50
; %bb.48:                               ;   in Loop: Header=BB12_9 Depth=2
	ds_load_u16 v10, v18
	s_waitcnt vmcnt(0)
	v_lshlrev_b32_e32 v11, 16, v36
	s_delay_alu instid0(VALU_DEP_1) | instskip(SKIP_2) | instid1(VALU_DEP_1)
	v_cmp_u_f32_e64 s3, v11, v11
	s_waitcnt lgkmcnt(0)
	v_lshlrev_b32_e32 v10, 16, v10
	v_cmp_gt_f32_e32 vcc_lo, v11, v10
	s_delay_alu instid0(VALU_DEP_3) | instskip(NEXT) | instid1(SALU_CYCLE_1)
	s_or_b32 s3, s3, vcc_lo
	s_and_b32 exec_lo, exec_lo, s3
	s_cbranch_execz .LBB12_50
; %bb.49:                               ;   in Loop: Header=BB12_9 Depth=2
	v_add_nc_u32_e32 v9, v33, v9
	ds_store_b16 v18, v36
	ds_store_b32 v19, v9
.LBB12_50:                              ;   in Loop: Header=BB12_9 Depth=2
	;; [unrolled: 64-line block ×3, first 2 shown]
	s_or_b32 exec_lo, exec_lo, s5
	s_branch .LBB12_13
.LBB12_60:                              ;   in Loop: Header=BB12_9 Depth=2
	s_delay_alu instid0(VALU_DEP_1)
	s_and_saveexec_b32 s4, s2
	s_cbranch_execz .LBB12_71
; %bb.61:                               ;   in Loop: Header=BB12_9 Depth=2
	v_cmp_lt_i32_e32 vcc_lo, v31, v6
	v_mov_b32_e32 v10, v5
	s_mov_b32 s5, 0
	s_branch .LBB12_63
.LBB12_62:                              ;   in Loop: Header=BB12_63 Depth=3
	s_or_b32 exec_lo, exec_lo, s6
	v_add_nc_u32_e32 v10, s28, v10
	s_delay_alu instid0(VALU_DEP_1) | instskip(NEXT) | instid1(VALU_DEP_1)
	v_cmp_ge_i32_e64 s2, v10, v29
	s_or_b32 s5, s2, s5
	s_delay_alu instid0(SALU_CYCLE_1)
	s_and_not1_b32 exec_lo, exec_lo, s5
	s_cbranch_execz .LBB12_71
.LBB12_63:                              ;   Parent Loop BB12_6 Depth=1
                                        ;     Parent Loop BB12_9 Depth=2
                                        ; =>    This Loop Header: Depth=3
                                        ;         Child Loop BB12_66 Depth 4
                                        ;           Child Loop BB12_69 Depth 5
	s_and_saveexec_b32 s6, vcc_lo
	s_cbranch_execz .LBB12_62
; %bb.64:                               ;   in Loop: Header=BB12_63 Depth=3
	s_waitcnt vmcnt(0)
	v_mul_lo_u32 v8, v10, s8
	v_mul_lo_u32 v11, v10, s19
	v_mov_b32_e32 v32, v31
	s_mov_b32 s38, 0
	s_delay_alu instid0(VALU_DEP_3) | instskip(NEXT) | instid1(VALU_DEP_1)
	v_ashrrev_i32_e32 v9, 31, v8
	v_lshlrev_b64 v[8:9], 1, v[8:9]
	s_delay_alu instid0(VALU_DEP_1) | instskip(NEXT) | instid1(VALU_DEP_1)
	v_add_co_u32 v12, s2, s16, v8
	v_add_co_ci_u32_e64 v13, s2, s20, v9, s2
	s_branch .LBB12_66
.LBB12_65:                              ;   in Loop: Header=BB12_66 Depth=4
	s_set_inst_prefetch_distance 0x2
	s_or_b32 exec_lo, exec_lo, s39
	v_add_nc_u32_e32 v32, s29, v32
	s_delay_alu instid0(VALU_DEP_1) | instskip(NEXT) | instid1(VALU_DEP_1)
	v_cmp_ge_i32_e64 s2, v32, v6
	s_or_b32 s38, s2, s38
	s_delay_alu instid0(SALU_CYCLE_1)
	s_and_not1_b32 exec_lo, exec_lo, s38
	s_cbranch_execz .LBB12_62
.LBB12_66:                              ;   Parent Loop BB12_6 Depth=1
                                        ;     Parent Loop BB12_9 Depth=2
                                        ;       Parent Loop BB12_63 Depth=3
                                        ; =>      This Loop Header: Depth=4
                                        ;           Child Loop BB12_69 Depth 5
	s_and_saveexec_b32 s39, s0
	s_cbranch_execz .LBB12_65
; %bb.67:                               ;   in Loop: Header=BB12_66 Depth=4
	v_mul_lo_u32 v8, v32, s9
	v_dual_mov_b32 v34, v23 :: v_dual_add_nc_u32 v33, v32, v11
	v_dual_mov_b32 v35, v22 :: v_dual_mov_b32 v38, v1
	s_mov_b32 s43, 0
	s_delay_alu instid0(VALU_DEP_3) | instskip(NEXT) | instid1(VALU_DEP_1)
	v_ashrrev_i32_e32 v9, 31, v8
	v_lshlrev_b64 v[36:37], 1, v[8:9]
	v_mov_b32_e32 v8, v4
	s_delay_alu instid0(VALU_DEP_2) | instskip(NEXT) | instid1(VALU_DEP_1)
	v_add_co_u32 v36, s2, v12, v36
	v_add_co_ci_u32_e64 v37, s2, v13, v37, s2
	s_set_inst_prefetch_distance 0x1
	s_branch .LBB12_69
	.p2align	6
.LBB12_68:                              ;   in Loop: Header=BB12_69 Depth=5
	s_or_b32 exec_lo, exec_lo, s2
	v_add_nc_u32_e32 v38, s12, v38
	v_add_nc_u32_e32 v8, s31, v8
	;; [unrolled: 1-line block ×4, first 2 shown]
	s_delay_alu instid0(VALU_DEP_4) | instskip(NEXT) | instid1(VALU_DEP_1)
	v_cmp_le_i32_e64 s2, s17, v38
	s_or_b32 s43, s2, s43
	s_delay_alu instid0(SALU_CYCLE_1)
	s_and_not1_b32 exec_lo, exec_lo, s43
	s_cbranch_execz .LBB12_65
.LBB12_69:                              ;   Parent Loop BB12_6 Depth=1
                                        ;     Parent Loop BB12_9 Depth=2
                                        ;       Parent Loop BB12_63 Depth=3
                                        ;         Parent Loop BB12_66 Depth=4
                                        ; =>        This Inner Loop Header: Depth=5
	v_ashrrev_i32_e32 v9, 31, v8
	s_delay_alu instid0(VALU_DEP_1) | instskip(NEXT) | instid1(VALU_DEP_1)
	v_lshlrev_b64 v[39:40], 1, v[8:9]
	v_add_co_u32 v39, s2, v36, v39
	s_delay_alu instid0(VALU_DEP_1)
	v_add_co_ci_u32_e64 v40, s2, v37, v40, s2
	global_load_u16 v9, v[39:40], off
	ds_load_u16 v39, v35
	s_waitcnt lgkmcnt(0)
	v_lshlrev_b32_e32 v39, 16, v39
	s_waitcnt vmcnt(0)
	v_lshlrev_b32_e32 v40, 16, v9
	s_delay_alu instid0(VALU_DEP_1) | instskip(SKIP_1) | instid1(VALU_DEP_1)
	v_cmp_gt_f32_e64 s2, v40, v39
	v_cmp_u_f32_e64 s3, v40, v40
	s_or_b32 s3, s3, s2
	s_delay_alu instid0(SALU_CYCLE_1)
	s_and_saveexec_b32 s2, s3
	s_cbranch_execz .LBB12_68
; %bb.70:                               ;   in Loop: Header=BB12_69 Depth=5
	ds_store_b16 v35, v9
	ds_store_b32 v34, v33
	s_branch .LBB12_68
.LBB12_71:                              ;   in Loop: Header=BB12_9 Depth=2
	s_or_b32 exec_lo, exec_lo, s4
	s_and_saveexec_b32 s3, s0
	s_cbranch_execz .LBB12_8
.LBB12_72:                              ;   in Loop: Header=BB12_9 Depth=2
	s_waitcnt vmcnt(0)
	v_ashrrev_i32_e32 v8, 31, v7
	v_dual_mov_b32 v6, v23 :: v_dual_mov_b32 v13, v1
	s_mov_b32 s4, 0
	s_delay_alu instid0(VALU_DEP_2) | instskip(SKIP_1) | instid1(VALU_DEP_2)
	v_lshlrev_b64 v[9:10], 1, v[7:8]
	v_lshlrev_b64 v[11:12], 3, v[7:8]
	v_add_co_u32 v8, vcc_lo, v24, v9
	s_delay_alu instid0(VALU_DEP_3) | instskip(NEXT) | instid1(VALU_DEP_3)
	v_add_co_ci_u32_e32 v9, vcc_lo, v25, v10, vcc_lo
	v_add_co_u32 v10, vcc_lo, v2, v11
	s_delay_alu instid0(VALU_DEP_4)
	v_add_co_ci_u32_e32 v11, vcc_lo, v27, v12, vcc_lo
	v_mov_b32_e32 v12, v22
	.p2align	6
.LBB12_73:                              ;   Parent Loop BB12_6 Depth=1
                                        ;     Parent Loop BB12_9 Depth=2
                                        ; =>    This Inner Loop Header: Depth=3
	ds_load_b32 v31, v6
	ds_load_u16 v32, v12
	v_add_nc_u32_e32 v13, s12, v13
	ds_store_b16 v12, v28
	ds_store_b32 v6, v21
	v_add_nc_u32_e32 v12, s41, v12
	v_add_nc_u32_e32 v6, s42, v6
	v_cmp_le_i32_e32 vcc_lo, s17, v13
	s_or_b32 s4, vcc_lo, s4
	s_waitcnt lgkmcnt(2)
	global_store_b16 v[8:9], v32, off
	v_ashrrev_i32_e32 v32, 31, v31
	v_add_co_u32 v8, s2, v8, s10
	s_delay_alu instid0(VALU_DEP_1) | instskip(SKIP_2) | instid1(VALU_DEP_1)
	v_add_co_ci_u32_e64 v9, s2, s11, v9, s2
	global_store_b64 v[10:11], v[31:32], off
	v_add_co_u32 v10, s2, v10, s14
	v_add_co_ci_u32_e64 v11, s2, s15, v11, s2
	s_and_not1_b32 exec_lo, exec_lo, s4
	s_cbranch_execnz .LBB12_73
	s_branch .LBB12_8
.LBB12_74:
	s_nop 0
	s_sendmsg sendmsg(MSG_DEALLOC_VGPRS)
	s_endpgm
	.section	.rodata,"a",@progbits
	.p2align	6, 0x0
	.amdhsa_kernel _ZN2at6native12_GLOBAL__N_121max_pool_forward_nhwcIN3c108BFloat16EiEEvPKT_iT0_S8_S8_S8_S8_iiiiiiiiS8_S8_S8_S8_iiPS5_Pl
		.amdhsa_group_segment_fixed_size 0
		.amdhsa_private_segment_fixed_size 0
		.amdhsa_kernarg_size 360
		.amdhsa_user_sgpr_count 13
		.amdhsa_user_sgpr_dispatch_ptr 0
		.amdhsa_user_sgpr_queue_ptr 0
		.amdhsa_user_sgpr_kernarg_segment_ptr 1
		.amdhsa_user_sgpr_dispatch_id 0
		.amdhsa_user_sgpr_private_segment_size 0
		.amdhsa_wavefront_size32 1
		.amdhsa_uses_dynamic_stack 0
		.amdhsa_enable_private_segment 0
		.amdhsa_system_sgpr_workgroup_id_x 1
		.amdhsa_system_sgpr_workgroup_id_y 1
		.amdhsa_system_sgpr_workgroup_id_z 1
		.amdhsa_system_sgpr_workgroup_info 0
		.amdhsa_system_vgpr_workitem_id 2
		.amdhsa_next_free_vgpr 46
		.amdhsa_next_free_sgpr 48
		.amdhsa_reserve_vcc 1
		.amdhsa_float_round_mode_32 0
		.amdhsa_float_round_mode_16_64 0
		.amdhsa_float_denorm_mode_32 3
		.amdhsa_float_denorm_mode_16_64 3
		.amdhsa_dx10_clamp 1
		.amdhsa_ieee_mode 1
		.amdhsa_fp16_overflow 0
		.amdhsa_workgroup_processor_mode 1
		.amdhsa_memory_ordered 1
		.amdhsa_forward_progress 0
		.amdhsa_shared_vgpr_count 0
		.amdhsa_exception_fp_ieee_invalid_op 0
		.amdhsa_exception_fp_denorm_src 0
		.amdhsa_exception_fp_ieee_div_zero 0
		.amdhsa_exception_fp_ieee_overflow 0
		.amdhsa_exception_fp_ieee_underflow 0
		.amdhsa_exception_fp_ieee_inexact 0
		.amdhsa_exception_int_div_zero 0
	.end_amdhsa_kernel
	.section	.text._ZN2at6native12_GLOBAL__N_121max_pool_forward_nhwcIN3c108BFloat16EiEEvPKT_iT0_S8_S8_S8_S8_iiiiiiiiS8_S8_S8_S8_iiPS5_Pl,"axG",@progbits,_ZN2at6native12_GLOBAL__N_121max_pool_forward_nhwcIN3c108BFloat16EiEEvPKT_iT0_S8_S8_S8_S8_iiiiiiiiS8_S8_S8_S8_iiPS5_Pl,comdat
.Lfunc_end12:
	.size	_ZN2at6native12_GLOBAL__N_121max_pool_forward_nhwcIN3c108BFloat16EiEEvPKT_iT0_S8_S8_S8_S8_iiiiiiiiS8_S8_S8_S8_iiPS5_Pl, .Lfunc_end12-_ZN2at6native12_GLOBAL__N_121max_pool_forward_nhwcIN3c108BFloat16EiEEvPKT_iT0_S8_S8_S8_S8_iiiiiiiiS8_S8_S8_S8_iiPS5_Pl
                                        ; -- End function
	.section	.AMDGPU.csdata,"",@progbits
; Kernel info:
; codeLenInByte = 3720
; NumSgprs: 50
; NumVgprs: 46
; ScratchSize: 0
; MemoryBound: 0
; FloatMode: 240
; IeeeMode: 1
; LDSByteSize: 0 bytes/workgroup (compile time only)
; SGPRBlocks: 6
; VGPRBlocks: 5
; NumSGPRsForWavesPerEU: 50
; NumVGPRsForWavesPerEU: 46
; Occupancy: 16
; WaveLimiterHint : 1
; COMPUTE_PGM_RSRC2:SCRATCH_EN: 0
; COMPUTE_PGM_RSRC2:USER_SGPR: 13
; COMPUTE_PGM_RSRC2:TRAP_HANDLER: 0
; COMPUTE_PGM_RSRC2:TGID_X_EN: 1
; COMPUTE_PGM_RSRC2:TGID_Y_EN: 1
; COMPUTE_PGM_RSRC2:TGID_Z_EN: 1
; COMPUTE_PGM_RSRC2:TIDIG_COMP_CNT: 2
	.section	.text._ZN2at6native12_GLOBAL__N_121max_pool_forward_nhwcIN3c108BFloat16ElEEvPKT_iT0_S8_S8_S8_S8_iiiiiiiiS8_S8_S8_S8_iiPS5_Pl,"axG",@progbits,_ZN2at6native12_GLOBAL__N_121max_pool_forward_nhwcIN3c108BFloat16ElEEvPKT_iT0_S8_S8_S8_S8_iiiiiiiiS8_S8_S8_S8_iiPS5_Pl,comdat
	.globl	_ZN2at6native12_GLOBAL__N_121max_pool_forward_nhwcIN3c108BFloat16ElEEvPKT_iT0_S8_S8_S8_S8_iiiiiiiiS8_S8_S8_S8_iiPS5_Pl ; -- Begin function _ZN2at6native12_GLOBAL__N_121max_pool_forward_nhwcIN3c108BFloat16ElEEvPKT_iT0_S8_S8_S8_S8_iiiiiiiiS8_S8_S8_S8_iiPS5_Pl
	.p2align	8
	.type	_ZN2at6native12_GLOBAL__N_121max_pool_forward_nhwcIN3c108BFloat16ElEEvPKT_iT0_S8_S8_S8_S8_iiiiiiiiS8_S8_S8_S8_iiPS5_Pl,@function
_ZN2at6native12_GLOBAL__N_121max_pool_forward_nhwcIN3c108BFloat16ElEEvPKT_iT0_S8_S8_S8_S8_iiiiiiiiS8_S8_S8_S8_iiPS5_Pl: ; @_ZN2at6native12_GLOBAL__N_121max_pool_forward_nhwcIN3c108BFloat16ElEEvPKT_iT0_S8_S8_S8_S8_iiiiiiiiS8_S8_S8_S8_iiPS5_Pl
; %bb.0:
	s_clause 0x1
	s_load_b128 s[4:7], s[0:1], 0x94
	s_load_b64 s[44:45], s[0:1], 0x78
	v_bfe_u32 v5, v0, 10, 10
	v_bfe_u32 v2, v0, 20, 10
	v_and_b32_e32 v6, 0x3ff, v0
	s_waitcnt lgkmcnt(0)
	s_lshr_b32 s33, s6, 16
	s_and_b32 s3, s6, 0xffff
	v_mad_u32_u24 v7, v2, s33, v5
	s_mul_i32 s2, s3, s45
	s_and_b32 s46, s7, 0xffff
	s_mul_i32 s6, s2, s33
	s_mov_b32 s7, exec_lo
	v_mad_u64_u32 v[0:1], null, v7, s3, v[6:7]
	s_mul_i32 s6, s6, s46
	s_delay_alu instid0(VALU_DEP_1) | instid1(SALU_CYCLE_1)
	v_cmpx_gt_u32_e64 s6, v0
	s_cbranch_execz .LBB13_3
; %bb.1:
	v_mov_b32_e32 v3, 0
	v_lshlrev_b32_e32 v1, 1, v0
	s_lshl_b32 s9, s6, 3
	s_mul_i32 s8, s33, s3
	v_lshl_add_u32 v8, v0, 3, 0
	v_mov_b32_e32 v4, v3
	v_add3_u32 v1, 0, s9, v1
	v_mov_b32_e32 v9, 0xffffff80
	s_mul_i32 s8, s8, s46
	s_mov_b32 s9, 0
	s_lshl_b32 s10, s8, 1
	s_lshl_b32 s11, s8, 3
.LBB13_2:                               ; =>This Inner Loop Header: Depth=1
	v_add_nc_u32_e32 v0, s8, v0
	ds_store_b16 v1, v9
	ds_store_b64 v8, v[3:4]
	v_add_nc_u32_e32 v1, s10, v1
	v_add_nc_u32_e32 v8, s11, v8
	v_cmp_le_u32_e32 vcc_lo, s6, v0
	s_or_b32 s9, vcc_lo, s9
	s_delay_alu instid0(SALU_CYCLE_1)
	s_and_not1_b32 exec_lo, exec_lo, s9
	s_cbranch_execnz .LBB13_2
.LBB13_3:
	s_or_b32 exec_lo, exec_lo, s7
	v_cvt_f32_u32_e32 v0, s5
	s_clause 0x1
	s_load_b32 s7, s[0:1], 0x8
	s_load_b256 s[16:23], s[0:1], 0x10
	s_sub_i32 s9, 0, s5
	s_waitcnt lgkmcnt(0)
	s_barrier
	v_rcp_iflag_f32_e32 v0, v0
	buffer_gl0_inv
	v_mul_f32_e32 v0, 0x4f7ffffe, v0
	s_delay_alu instid0(VALU_DEP_1) | instskip(SKIP_1) | instid1(SALU_CYCLE_1)
	v_cvt_u32_f32_e32 v0, v0
	s_add_i32 s10, s22, s5
	s_add_i32 s10, s10, -1
	s_delay_alu instid0(VALU_DEP_1) | instskip(SKIP_1) | instid1(VALU_DEP_2)
	v_readfirstlane_b32 s8, v0
	v_cvt_f32_u32_e32 v0, s7
	s_mul_i32 s9, s9, s8
	s_delay_alu instid0(VALU_DEP_1) | instskip(SKIP_3) | instid1(SALU_CYCLE_1)
	v_rcp_iflag_f32_e32 v3, v0
	s_mul_hi_u32 s9, s8, s9
	v_cvt_f32_u32_e32 v0, s4
	s_add_i32 s8, s8, s9
	s_mul_hi_u32 s8, s10, s8
	s_delay_alu instid0(VALU_DEP_1) | instskip(SKIP_1) | instid1(SALU_CYCLE_1)
	v_rcp_iflag_f32_e32 v4, v0
	s_mul_i32 s9, s8, s5
	s_sub_i32 s9, s10, s9
	s_add_i32 s10, s8, 1
	s_sub_i32 s11, s9, s5
	s_cmp_ge_u32 s9, s5
	s_cselect_b32 s8, s10, s8
	s_cselect_b32 s9, s11, s9
	s_add_i32 s10, s8, 1
	s_cmp_ge_u32 s9, s5
	s_mov_b32 s9, exec_lo
	s_cselect_b32 s5, s10, s8
	s_waitcnt_depctr 0xfff
	v_mad_u64_u32 v[0:1], null, s5, s15, v[2:3]
	v_dual_mul_f32 v1, 0x4f7ffffe, v3 :: v_dual_mul_f32 v2, 0x4f7ffffe, v4
	s_mov_b32 s15, 0
	s_delay_alu instid0(VALU_DEP_1) | instskip(NEXT) | instid1(VALU_DEP_3)
	v_cvt_u32_f32_e32 v1, v1
	v_add_nc_u32_e32 v3, s5, v0
	s_delay_alu instid0(VALU_DEP_3) | instskip(NEXT) | instid1(VALU_DEP_3)
	v_cvt_u32_f32_e32 v2, v2
	v_readfirstlane_b32 s8, v1
	s_delay_alu instid0(VALU_DEP_3) | instskip(NEXT) | instid1(VALU_DEP_3)
	v_min_i32_e32 v36, s22, v3
	v_readfirstlane_b32 s5, v2
	s_delay_alu instid0(VALU_DEP_2)
	v_cmpx_lt_i32_e64 v0, v36
	s_cbranch_execz .LBB13_78
; %bb.4:
	s_clause 0x1
	s_load_b64 s[34:35], s[0:1], 0x30
	s_load_b64 s[48:49], s[0:1], 0x0
	s_sub_i32 s9, 0, s7
	s_sub_i32 s10, 0, s4
	s_mul_i32 s9, s9, s8
	s_mul_i32 s10, s10, s5
	s_mul_hi_u32 s9, s8, s9
	s_load_b256 s[24:31], s[0:1], 0x58
	s_add_i32 s8, s8, s9
	s_mul_hi_u32 s9, s5, s10
	s_mul_hi_u32 s8, s13, s8
	s_add_i32 s12, s5, s9
	s_mul_i32 s5, s8, s7
	s_lshl_b32 s6, s6, 3
	s_sub_i32 s5, s13, s5
	s_add_i32 s6, s6, 0
	s_add_i32 s9, s8, 1
	s_sub_i32 s11, s5, s7
	v_mul_lo_u32 v3, s2, v7
	s_load_b256 s[36:43], s[0:1], 0x38
	s_waitcnt lgkmcnt(0)
	s_add_i32 s10, s34, s4
	v_mov_b32_e32 v46, 0xffffff80
	s_add_i32 s50, s10, -1
	s_cmp_ge_u32 s5, s7
	s_mul_hi_u32 s12, s50, s12
	s_cselect_b32 s2, s9, s8
	s_cselect_b32 s5, s11, s5
	s_add_i32 s8, s2, 1
	s_cmp_ge_u32 s5, s7
	v_lshlrev_b32_e32 v10, 1, v3
	s_cselect_b32 s2, s8, s2
	s_load_b128 s[8:11], s[0:1], 0x80
	s_mul_i32 s5, s2, s7
	v_mad_u64_u32 v[1:2], null, s2, s3, v[6:7]
	s_sub_i32 s5, s13, s5
	v_lshlrev_b32_e32 v11, 3, v3
	s_mul_i32 s0, s5, s25
	s_mul_hi_u32 s1, s5, s24
	s_ashr_i32 s7, s5, 31
	s_add_i32 s1, s1, s0
	s_mul_i32 s13, s7, s24
	s_mul_i32 s0, s5, s24
	s_add_i32 s1, s1, s13
	s_mul_i32 s13, s12, s4
	s_lshl_b64 s[0:1], s[0:1], 1
	v_ashrrev_i32_e32 v2, 31, v1
	s_add_u32 s47, s48, s0
	s_addc_u32 s48, s49, s1
	s_sub_i32 s0, s50, s13
	s_add_i32 s1, s12, 1
	s_sub_i32 s13, s0, s4
	s_cmp_ge_u32 s0, s4
	v_mul_lo_u32 v8, v1, s27
	s_cselect_b32 s1, s1, s12
	s_cselect_b32 s0, s13, s0
	s_add_i32 s2, s1, 1
	s_cmp_ge_u32 s0, s4
	v_mul_lo_u32 v9, v2, s26
	s_cselect_b32 s0, s2, s1
	s_add_i32 s1, s37, -1
	v_mad_u64_u32 v[3:4], null, s0, s14, v[5:6]
	v_mad_u64_u32 v[4:5], null, v1, s26, 0
	s_mul_i32 s1, s1, s43
	s_mul_i32 s14, s3, s44
	s_add_i32 s53, s1, 1
	s_max_i32 s1, s36, s37
	s_delay_alu instid0(VALU_DEP_2) | instskip(SKIP_1) | instid1(VALU_DEP_2)
	v_add_nc_u32_e32 v12, s0, v3
	s_add_i32 s0, s36, -1
	v_add3_u32 v5, v5, v8, v9
	s_mul_i32 s0, s0, s42
	s_mul_i32 s37, s33, s46
	s_add_i32 s51, s0, 1
	s_ashr_i32 s13, s42, 31
	v_lshlrev_b64 v[8:9], 1, v[4:5]
	s_mov_b32 s12, s42
	v_cmp_ge_i64_e64 s2, s[14:15], s[16:17]
	s_mov_b32 s49, s40
	s_ashr_i32 s40, s40, 31
	s_ashr_i32 s50, s41, 31
	v_add_co_u32 v38, vcc_lo, s47, v8
	v_add_co_ci_u32_e32 v39, vcc_lo, s48, v9, vcc_lo
	v_lshlrev_b32_e32 v9, 1, v7
	s_ashr_i32 s52, s51, 31
	s_ashr_i32 s55, s53, 31
	;; [unrolled: 1-line block ×3, first 2 shown]
	v_cmp_gt_u64_e64 s4, s[12:13], 1
	v_lshl_add_u32 v9, s37, 3, v9
	s_cmp_lt_i32 s1, 4
	v_lshlrev_b32_e32 v8, 1, v6
	s_cselect_b32 s1, -1, 0
	v_lshlrev_b32_e32 v6, 3, v6
	v_mul_lo_u32 v9, s45, v9
	s_and_b32 s58, s1, s2
	s_ashr_i32 s36, s44, 31
	s_and_b32 s4, s4, exec_lo
	s_mov_b32 s24, s14
	s_cselect_b32 s14, s13, 0
	s_cselect_b32 s59, s42, 1
	v_add3_u32 v40, s6, v10, v8
	v_add3_u32 v41, 0, v11, v6
	v_cvt_f32_u32_e32 v10, s59
	v_cvt_f32_u32_e32 v11, s14
	v_mul_lo_u32 v9, v9, s3
	v_mul_lo_u32 v7, s45, v7
	s_add_u32 s4, s41, s43
	s_addc_u32 s6, s50, s56
	v_fmac_f32_e32 v10, 0x4f800000, v11
	s_mov_b32 s54, s41
	s_sub_u32 s41, 0, s4
	s_subb_u32 s60, 0, s6
	v_add3_u32 v42, v9, v8, 0
	v_rcp_f32_e32 v8, v10
	v_mul_lo_u32 v7, v7, s3
	s_mul_hi_u32 s4, s26, s44
	s_mul_i32 s6, s26, s36
	v_min_i32_e32 v37, s34, v12
	s_add_i32 s4, s4, s6
	s_mul_i32 s6, s27, s44
	s_mul_hi_i32 s25, s3, s44
	s_add_i32 s4, s4, s6
	v_lshlrev_b32_e32 v7, 3, v7
	s_waitcnt_depctr 0xfff
	v_mul_f32_e32 v11, 0x5f7ffffc, v8
	s_mul_i32 s6, s26, s44
	s_mul_i32 s4, s4, s3
	s_mul_hi_u32 s26, s6, s3
	v_add3_u32 v43, v7, v6, 0
	v_mul_f32_e32 v10, 0x2f800000, v11
	v_lshlrev_b64 v[6:7], 3, v[1:2]
	v_lshlrev_b64 v[8:9], 1, v[1:2]
	s_add_i32 s44, s26, s4
	s_mul_i32 s45, s6, s3
	v_trunc_f32_e32 v12, v10
	s_mul_i32 s4, s34, s23
	s_mul_hi_u32 s6, s34, s22
	s_lshl_b32 s61, s3, 1
	s_lshl_b32 s62, s3, 3
	v_fmac_f32_e32 v11, 0xcf800000, v12
	s_add_i32 s3, s6, s4
	s_mul_i32 s4, s34, s22
	s_mul_i32 s6, s35, s22
	s_waitcnt lgkmcnt(0)
	v_add_co_u32 v6, vcc_lo, s10, v6
	s_mul_i32 s7, s4, s7
	s_mul_hi_u32 s22, s4, s5
	s_add_i32 s3, s3, s6
	v_add_co_ci_u32_e32 v7, vcc_lo, s11, v7, vcc_lo
	v_add_co_u32 v8, vcc_lo, s8, v8
	v_cmp_le_i64_e64 s1, s[16:17], v[1:2]
	v_cmp_gt_i64_e64 s2, s[16:17], v[1:2]
	s_add_i32 s6, s22, s7
	s_mul_i32 s3, s3, s5
	v_cmp_lt_i32_e64 s0, v3, v37
	v_add_co_ci_u32_e32 v9, vcc_lo, s9, v9, vcc_lo
	v_mov_b32_e32 v10, 0
	v_cvt_u32_f32_e32 v44, v11
	v_cvt_u32_f32_e32 v45, v12
	s_add_i32 s7, s6, s3
	s_mul_i32 s6, s4, s5
	s_mov_b32 s57, s43
	s_lshl_b64 s[10:11], s[6:7], 3
	s_lshl_b64 s[22:23], s[24:25], 3
	;; [unrolled: 1-line block ×4, first 2 shown]
	s_branch .LBB13_6
.LBB13_5:                               ;   in Loop: Header=BB13_6 Depth=1
	s_or_b32 exec_lo, exec_lo, s9
	v_add_nc_u32_e32 v0, s46, v0
	s_delay_alu instid0(VALU_DEP_1) | instskip(SKIP_1) | instid1(SALU_CYCLE_1)
	v_cmp_ge_i32_e32 vcc_lo, v0, v36
	s_or_b32 s15, vcc_lo, s15
	s_and_not1_b32 exec_lo, exec_lo, s15
	s_cbranch_execz .LBB13_78
.LBB13_6:                               ; =>This Loop Header: Depth=1
                                        ;     Child Loop BB13_9 Depth 2
                                        ;       Child Loop BB13_14 Depth 3
                                        ;       Child Loop BB13_67 Depth 3
                                        ;         Child Loop BB13_70 Depth 4
                                        ;           Child Loop BB13_73 Depth 5
                                        ;       Child Loop BB13_77 Depth 3
	s_and_saveexec_b32 s9, s0
	s_cbranch_execz .LBB13_5
; %bb.7:                                ;   in Loop: Header=BB13_6 Depth=1
	v_mad_i64_i32 v[11:12], null, v0, s38, 0
	v_ashrrev_i32_e32 v18, 31, v0
	v_mul_lo_u32 v19, s35, v0
	s_mov_b32 s63, 0
	v_mov_b32_e32 v47, v3
	s_delay_alu instid0(VALU_DEP_4) | instskip(SKIP_2) | instid1(VALU_DEP_3)
	v_sub_co_u32 v14, vcc_lo, v11, s49
	v_subrev_co_ci_u32_e32 v15, vcc_lo, s40, v12, vcc_lo
	v_mad_u64_u32 v[12:13], null, s34, v0, 0
	v_add_co_u32 v16, vcc_lo, v14, s51
	s_delay_alu instid0(VALU_DEP_3) | instskip(SKIP_1) | instid1(VALU_DEP_2)
	v_add_co_ci_u32_e32 v17, vcc_lo, s52, v15, vcc_lo
	v_mul_lo_u32 v11, s34, v18
	v_cmp_gt_i64_e32 vcc_lo, s[18:19], v[16:17]
	s_delay_alu instid0(VALU_DEP_2)
	v_add3_u32 v13, v13, v11, v19
	v_cndmask_b32_e32 v17, s19, v17, vcc_lo
	v_cndmask_b32_e32 v16, s18, v16, vcc_lo
	s_branch .LBB13_9
.LBB13_8:                               ;   in Loop: Header=BB13_9 Depth=2
	s_or_b32 exec_lo, exec_lo, s4
	v_add_nc_u32_e32 v47, s33, v47
	s_delay_alu instid0(VALU_DEP_1) | instskip(SKIP_1) | instid1(SALU_CYCLE_1)
	v_cmp_ge_i32_e32 vcc_lo, v47, v37
	s_or_b32 s63, vcc_lo, s63
	s_and_not1_b32 exec_lo, exec_lo, s63
	s_cbranch_execz .LBB13_5
.LBB13_9:                               ;   Parent Loop BB13_6 Depth=1
                                        ; =>  This Loop Header: Depth=2
                                        ;       Child Loop BB13_14 Depth 3
                                        ;       Child Loop BB13_67 Depth 3
                                        ;         Child Loop BB13_70 Depth 4
                                        ;           Child Loop BB13_73 Depth 5
                                        ;       Child Loop BB13_77 Depth 3
	v_cmp_lt_i64_e32 vcc_lo, 0, v[14:15]
	v_lshrrev_b32_e32 v24, 31, v15
	s_mov_b32 s3, exec_lo
	v_dual_cndmask_b32 v11, 0, v15 :: v_dual_cndmask_b32 v18, 0, v14
	s_delay_alu instid0(VALU_DEP_2) | instskip(SKIP_1) | instid1(VALU_DEP_2)
	v_add_co_u32 v19, vcc_lo, v14, v24
	v_add_co_ci_u32_e32 v20, vcc_lo, 0, v15, vcc_lo
	v_sub_co_u32 v18, vcc_lo, v18, v19
	s_delay_alu instid0(VALU_DEP_2) | instskip(NEXT) | instid1(VALU_DEP_1)
	v_sub_co_ci_u32_e32 v19, vcc_lo, v11, v20, vcc_lo
                                        ; implicit-def: $vgpr20_vgpr21
	v_or_b32_e32 v11, s14, v19
	s_delay_alu instid0(VALU_DEP_1)
	v_cmpx_ne_u64_e32 0, v[10:11]
	s_xor_b32 s4, exec_lo, s3
	s_cbranch_execz .LBB13_11
; %bb.10:                               ;   in Loop: Header=BB13_9 Depth=2
	s_sub_u32 s3, 0, s59
	s_subb_u32 s5, 0, s14
	v_mul_hi_u32 v11, s3, v44
	v_mul_lo_u32 v20, s3, v45
	v_mul_lo_u32 v21, s5, v44
	s_delay_alu instid0(VALU_DEP_2) | instskip(SKIP_1) | instid1(VALU_DEP_2)
	v_add_nc_u32_e32 v11, v11, v20
	v_mul_lo_u32 v20, s3, v44
	v_add_nc_u32_e32 v11, v11, v21
	s_delay_alu instid0(VALU_DEP_2) | instskip(NEXT) | instid1(VALU_DEP_2)
	v_mul_hi_u32 v21, v44, v20
	v_mul_lo_u32 v22, v44, v11
	v_mul_hi_u32 v23, v44, v11
	v_mul_hi_u32 v25, v45, v20
	v_mul_lo_u32 v20, v45, v20
	v_mul_hi_u32 v26, v45, v11
	v_mul_lo_u32 v11, v45, v11
	v_add_co_u32 v21, vcc_lo, v21, v22
	v_add_co_ci_u32_e32 v22, vcc_lo, 0, v23, vcc_lo
	s_delay_alu instid0(VALU_DEP_2) | instskip(NEXT) | instid1(VALU_DEP_2)
	v_add_co_u32 v20, vcc_lo, v21, v20
	v_add_co_ci_u32_e32 v20, vcc_lo, v22, v25, vcc_lo
	v_add_co_ci_u32_e32 v21, vcc_lo, 0, v26, vcc_lo
	s_delay_alu instid0(VALU_DEP_2) | instskip(NEXT) | instid1(VALU_DEP_2)
	v_add_co_u32 v11, vcc_lo, v20, v11
	v_add_co_ci_u32_e32 v20, vcc_lo, 0, v21, vcc_lo
	s_delay_alu instid0(VALU_DEP_2) | instskip(NEXT) | instid1(VALU_DEP_2)
	v_add_co_u32 v11, vcc_lo, v44, v11
	v_add_co_ci_u32_e32 v20, vcc_lo, v45, v20, vcc_lo
	s_delay_alu instid0(VALU_DEP_2) | instskip(SKIP_1) | instid1(VALU_DEP_3)
	v_mul_hi_u32 v21, s3, v11
	v_mul_lo_u32 v23, s5, v11
	v_mul_lo_u32 v22, s3, v20
	s_delay_alu instid0(VALU_DEP_1) | instskip(SKIP_1) | instid1(VALU_DEP_2)
	v_add_nc_u32_e32 v21, v21, v22
	v_mul_lo_u32 v22, s3, v11
	v_add_nc_u32_e32 v21, v21, v23
	s_delay_alu instid0(VALU_DEP_2) | instskip(NEXT) | instid1(VALU_DEP_2)
	v_mul_hi_u32 v23, v11, v22
	v_mul_lo_u32 v25, v11, v21
	v_mul_hi_u32 v26, v11, v21
	v_mul_hi_u32 v27, v20, v22
	v_mul_lo_u32 v22, v20, v22
	v_mul_hi_u32 v28, v20, v21
	v_mul_lo_u32 v21, v20, v21
	v_add_co_u32 v23, vcc_lo, v23, v25
	v_add_co_ci_u32_e32 v25, vcc_lo, 0, v26, vcc_lo
	s_delay_alu instid0(VALU_DEP_2) | instskip(NEXT) | instid1(VALU_DEP_2)
	v_add_co_u32 v22, vcc_lo, v23, v22
	v_add_co_ci_u32_e32 v22, vcc_lo, v25, v27, vcc_lo
	v_add_co_ci_u32_e32 v23, vcc_lo, 0, v28, vcc_lo
	s_delay_alu instid0(VALU_DEP_2) | instskip(NEXT) | instid1(VALU_DEP_2)
	v_add_co_u32 v21, vcc_lo, v22, v21
	v_add_co_ci_u32_e32 v22, vcc_lo, 0, v23, vcc_lo
	s_delay_alu instid0(VALU_DEP_2) | instskip(NEXT) | instid1(VALU_DEP_2)
	v_add_co_u32 v11, vcc_lo, v11, v21
	v_add_co_ci_u32_e32 v27, vcc_lo, v20, v22, vcc_lo
	s_delay_alu instid0(VALU_DEP_2) | instskip(SKIP_1) | instid1(VALU_DEP_3)
	v_mul_hi_u32 v28, v18, v11
	v_mad_u64_u32 v[22:23], null, v19, v11, 0
	v_mad_u64_u32 v[20:21], null, v18, v27, 0
	;; [unrolled: 1-line block ×3, first 2 shown]
	s_delay_alu instid0(VALU_DEP_2) | instskip(NEXT) | instid1(VALU_DEP_3)
	v_add_co_u32 v11, vcc_lo, v28, v20
	v_add_co_ci_u32_e32 v20, vcc_lo, 0, v21, vcc_lo
	s_delay_alu instid0(VALU_DEP_2) | instskip(NEXT) | instid1(VALU_DEP_2)
	v_add_co_u32 v11, vcc_lo, v11, v22
	v_add_co_ci_u32_e32 v11, vcc_lo, v20, v23, vcc_lo
	v_add_co_ci_u32_e32 v20, vcc_lo, 0, v26, vcc_lo
	s_delay_alu instid0(VALU_DEP_2) | instskip(NEXT) | instid1(VALU_DEP_2)
	v_add_co_u32 v11, vcc_lo, v11, v25
	v_add_co_ci_u32_e32 v22, vcc_lo, 0, v20, vcc_lo
	s_delay_alu instid0(VALU_DEP_2) | instskip(SKIP_1) | instid1(VALU_DEP_3)
	v_mul_lo_u32 v23, s14, v11
	v_mad_u64_u32 v[20:21], null, s59, v11, 0
	v_mul_lo_u32 v25, s59, v22
	s_delay_alu instid0(VALU_DEP_2) | instskip(NEXT) | instid1(VALU_DEP_2)
	v_sub_co_u32 v18, vcc_lo, v18, v20
	v_add3_u32 v21, v21, v25, v23
	s_delay_alu instid0(VALU_DEP_1) | instskip(NEXT) | instid1(VALU_DEP_1)
	v_sub_nc_u32_e32 v23, v19, v21
	v_subrev_co_ci_u32_e64 v20, s3, s14, v23, vcc_lo
	v_add_co_u32 v23, s3, v11, 2
	s_delay_alu instid0(VALU_DEP_1) | instskip(SKIP_3) | instid1(VALU_DEP_3)
	v_add_co_ci_u32_e64 v25, s3, 0, v22, s3
	v_sub_co_u32 v26, s3, v18, s59
	v_sub_co_ci_u32_e32 v19, vcc_lo, v19, v21, vcc_lo
	v_subrev_co_ci_u32_e64 v20, s3, 0, v20, s3
	v_cmp_le_u32_e32 vcc_lo, s59, v26
	s_delay_alu instid0(VALU_DEP_3) | instskip(SKIP_1) | instid1(VALU_DEP_4)
	v_cmp_eq_u32_e64 s3, s14, v19
	v_cndmask_b32_e64 v21, 0, -1, vcc_lo
	v_cmp_le_u32_e32 vcc_lo, s14, v20
	v_cndmask_b32_e64 v26, 0, -1, vcc_lo
	v_cmp_le_u32_e32 vcc_lo, s59, v18
	;; [unrolled: 2-line block ×3, first 2 shown]
	v_cndmask_b32_e64 v27, 0, -1, vcc_lo
	v_cmp_eq_u32_e32 vcc_lo, s14, v20
	s_delay_alu instid0(VALU_DEP_2) | instskip(SKIP_3) | instid1(VALU_DEP_3)
	v_cndmask_b32_e64 v18, v27, v18, s3
	v_cndmask_b32_e32 v20, v26, v21, vcc_lo
	v_add_co_u32 v21, vcc_lo, v11, 1
	v_add_co_ci_u32_e32 v26, vcc_lo, 0, v22, vcc_lo
	v_cmp_ne_u32_e32 vcc_lo, 0, v20
	s_delay_alu instid0(VALU_DEP_2) | instskip(SKIP_1) | instid1(VALU_DEP_2)
	v_dual_cndmask_b32 v19, v26, v25 :: v_dual_cndmask_b32 v20, v21, v23
	v_cmp_ne_u32_e32 vcc_lo, 0, v18
                                        ; implicit-def: $vgpr18
	v_dual_cndmask_b32 v20, v11, v20 :: v_dual_cndmask_b32 v21, v22, v19
.LBB13_11:                              ;   in Loop: Header=BB13_9 Depth=2
	s_and_not1_saveexec_b32 s3, s4
	s_cbranch_execz .LBB13_13
; %bb.12:                               ;   in Loop: Header=BB13_9 Depth=2
	v_cvt_f32_u32_e32 v11, s59
	s_sub_i32 s4, 0, s59
	v_mov_b32_e32 v21, v10
	s_delay_alu instid0(VALU_DEP_2) | instskip(SKIP_2) | instid1(VALU_DEP_1)
	v_rcp_iflag_f32_e32 v11, v11
	s_waitcnt_depctr 0xfff
	v_mul_f32_e32 v11, 0x4f7ffffe, v11
	v_cvt_u32_f32_e32 v11, v11
	s_delay_alu instid0(VALU_DEP_1) | instskip(NEXT) | instid1(VALU_DEP_1)
	v_mul_lo_u32 v19, s4, v11
	v_mul_hi_u32 v19, v11, v19
	s_delay_alu instid0(VALU_DEP_1) | instskip(NEXT) | instid1(VALU_DEP_1)
	v_add_nc_u32_e32 v11, v11, v19
	v_mul_hi_u32 v11, v18, v11
	s_delay_alu instid0(VALU_DEP_1) | instskip(NEXT) | instid1(VALU_DEP_1)
	v_mul_lo_u32 v19, v11, s59
	v_sub_nc_u32_e32 v18, v18, v19
	v_add_nc_u32_e32 v19, 1, v11
	s_delay_alu instid0(VALU_DEP_2) | instskip(SKIP_1) | instid1(VALU_DEP_2)
	v_subrev_nc_u32_e32 v20, s59, v18
	v_cmp_le_u32_e32 vcc_lo, s59, v18
	v_dual_cndmask_b32 v18, v18, v20 :: v_dual_cndmask_b32 v11, v11, v19
	s_delay_alu instid0(VALU_DEP_1) | instskip(NEXT) | instid1(VALU_DEP_2)
	v_cmp_le_u32_e32 vcc_lo, s59, v18
	v_add_nc_u32_e32 v19, 1, v11
	s_delay_alu instid0(VALU_DEP_1)
	v_cndmask_b32_e32 v20, v11, v19, vcc_lo
.LBB13_13:                              ;   in Loop: Header=BB13_9 Depth=2
	s_or_b32 exec_lo, exec_lo, s3
	v_mad_i64_i32 v[22:23], null, s39, v47, 0
	v_ashrrev_i32_e32 v11, 31, v47
	s_mov_b32 s3, 0
	s_delay_alu instid0(VALU_DEP_2) | instskip(NEXT) | instid1(VALU_DEP_3)
	v_add_co_u32 v18, vcc_lo, s41, v22
	v_add_co_ci_u32_e32 v19, vcc_lo, s60, v23, vcc_lo
.LBB13_14:                              ;   Parent Loop BB13_6 Depth=1
                                        ;     Parent Loop BB13_9 Depth=2
                                        ; =>    This Inner Loop Header: Depth=3
	s_delay_alu instid0(VALU_DEP_2) | instskip(NEXT) | instid1(VALU_DEP_2)
	v_add_co_u32 v18, vcc_lo, v18, s57
	v_add_co_ci_u32_e32 v19, vcc_lo, s56, v19, vcc_lo
	s_delay_alu instid0(VALU_DEP_1) | instskip(SKIP_1) | instid1(SALU_CYCLE_1)
	v_cmp_lt_i64_e32 vcc_lo, -1, v[18:19]
	s_or_b32 s3, vcc_lo, s3
	s_and_not1_b32 exec_lo, exec_lo, s3
	s_cbranch_execnz .LBB13_14
; %bb.15:                               ;   in Loop: Header=BB13_9 Depth=2
	s_or_b32 exec_lo, exec_lo, s3
	v_sub_co_u32 v22, vcc_lo, v22, s54
	v_subrev_co_ci_u32_e32 v23, vcc_lo, s50, v23, vcc_lo
	v_add_co_u32 v24, vcc_lo, v24, v20
	v_add_co_ci_u32_e32 v25, vcc_lo, 0, v21, vcc_lo
	s_delay_alu instid0(VALU_DEP_4) | instskip(NEXT) | instid1(VALU_DEP_4)
	v_add_co_u32 v20, vcc_lo, v22, s53
	v_add_co_ci_u32_e32 v21, vcc_lo, s55, v23, vcc_lo
	s_delay_alu instid0(VALU_DEP_4) | instskip(NEXT) | instid1(VALU_DEP_4)
	v_mul_lo_u32 v26, v24, s13
	v_mul_lo_u32 v25, v25, s12
	v_mad_u64_u32 v[22:23], null, v24, s12, v[14:15]
	s_delay_alu instid0(VALU_DEP_4) | instskip(SKIP_1) | instid1(VALU_DEP_2)
	v_cmp_gt_i64_e32 vcc_lo, s[20:21], v[20:21]
	s_mov_b32 s3, -1
	v_add3_u32 v15, v25, v23, v26
	s_delay_alu instid0(VALU_DEP_3)
	v_dual_cndmask_b32 v21, s21, v21 :: v_dual_mov_b32 v14, v22
	v_cndmask_b32_e32 v20, s20, v20, vcc_lo
	s_and_b32 vcc_lo, exec_lo, s58
	s_cbranch_vccnz .LBB13_18
; %bb.16:                               ;   in Loop: Header=BB13_9 Depth=2
	s_and_b32 vcc_lo, exec_lo, s3
	s_cbranch_vccnz .LBB13_64
.LBB13_17:                              ;   in Loop: Header=BB13_9 Depth=2
	s_and_saveexec_b32 s4, s2
	s_cbranch_execz .LBB13_8
	s_branch .LBB13_76
.LBB13_18:                              ;   in Loop: Header=BB13_9 Depth=2
	s_delay_alu instid0(VALU_DEP_2) | instskip(SKIP_3) | instid1(VALU_DEP_4)
	v_ashrrev_i32_e32 v29, 31, v14
	v_mul_lo_u32 v26, v14, s29
	v_mad_u64_u32 v[24:25], null, v14, s28, 0
	v_mov_b32_e32 v28, v14
	v_mul_lo_u32 v27, v29, s28
	v_ashrrev_i32_e32 v23, 31, v18
	v_mov_b32_e32 v22, v18
	s_waitcnt vmcnt(0)
	v_mov_b32_e32 v48, 0
	v_cmp_le_i64_e32 vcc_lo, v[16:17], v[28:29]
	v_mov_b32_e32 v52, 0
	v_mul_lo_u32 v34, v23, s30
	v_cmp_le_i64_e64 s5, v[20:21], v[22:23]
	v_add3_u32 v25, v25, v26, v27
	v_mul_lo_u32 v35, v22, s31
	s_delay_alu instid0(VALU_DEP_3) | instskip(NEXT) | instid1(VALU_DEP_2)
	s_or_b32 s4, vcc_lo, s5
	v_lshlrev_b64 v[24:25], 1, v[24:25]
	s_delay_alu instid0(VALU_DEP_1) | instskip(NEXT) | instid1(VALU_DEP_1)
	v_add_co_u32 v30, s3, v38, v24
	v_add_co_ci_u32_e64 v31, s3, v39, v25, s3
	s_or_b32 s3, s4, s1
	s_delay_alu instid0(SALU_CYCLE_1) | instskip(NEXT) | instid1(SALU_CYCLE_1)
	s_xor_b32 s3, s3, -1
	s_and_saveexec_b32 s4, s3
	s_cbranch_execz .LBB13_20
; %bb.19:                               ;   in Loop: Header=BB13_9 Depth=2
	v_mad_u64_u32 v[24:25], null, v22, s30, 0
	s_delay_alu instid0(VALU_DEP_1) | instskip(NEXT) | instid1(VALU_DEP_1)
	v_add3_u32 v25, v25, v35, v34
	v_lshlrev_b64 v[24:25], 1, v[24:25]
	s_delay_alu instid0(VALU_DEP_1) | instskip(NEXT) | instid1(VALU_DEP_1)
	v_add_co_u32 v24, s3, v30, v24
	v_add_co_ci_u32_e64 v25, s3, v31, v25, s3
	global_load_u16 v52, v[24:25], off
.LBB13_20:                              ;   in Loop: Header=BB13_9 Depth=2
	s_or_b32 exec_lo, exec_lo, s4
	v_add_nc_u32_e32 v24, s43, v18
	s_delay_alu instid0(VALU_DEP_1) | instskip(SKIP_1) | instid1(VALU_DEP_2)
	v_ashrrev_i32_e32 v25, 31, v24
	v_mul_lo_u32 v57, v24, s31
	v_cmp_le_i64_e64 s6, v[20:21], v[24:25]
	v_mul_lo_u32 v54, v25, s30
	s_delay_alu instid0(VALU_DEP_2) | instskip(NEXT) | instid1(SALU_CYCLE_1)
	s_or_b32 s3, vcc_lo, s6
	s_or_b32 s3, s3, s1
	s_delay_alu instid0(SALU_CYCLE_1) | instskip(NEXT) | instid1(SALU_CYCLE_1)
	s_xor_b32 s3, s3, -1
	s_and_saveexec_b32 s4, s3
	s_cbranch_execz .LBB13_22
; %bb.21:                               ;   in Loop: Header=BB13_9 Depth=2
	v_mad_u64_u32 v[26:27], null, v24, s30, 0
	s_delay_alu instid0(VALU_DEP_1) | instskip(NEXT) | instid1(VALU_DEP_1)
	v_add3_u32 v27, v27, v57, v54
	v_lshlrev_b64 v[26:27], 1, v[26:27]
	s_delay_alu instid0(VALU_DEP_1) | instskip(NEXT) | instid1(VALU_DEP_1)
	v_add_co_u32 v26, s3, v30, v26
	v_add_co_ci_u32_e64 v27, s3, v31, v27, s3
	global_load_u16 v48, v[26:27], off
.LBB13_22:                              ;   in Loop: Header=BB13_9 Depth=2
	s_or_b32 exec_lo, exec_lo, s4
	v_dual_mov_b32 v49, 0 :: v_dual_add_nc_u32 v26, s43, v24
	v_mov_b32_e32 v53, 0
	s_delay_alu instid0(VALU_DEP_2) | instskip(SKIP_1) | instid1(VALU_DEP_2)
	v_ashrrev_i32_e32 v27, 31, v26
	v_mul_lo_u32 v58, v26, s31
	v_cmp_le_i64_e64 s7, v[20:21], v[26:27]
	v_mul_lo_u32 v59, v27, s30
	s_delay_alu instid0(VALU_DEP_2) | instskip(NEXT) | instid1(SALU_CYCLE_1)
	s_or_b32 s3, vcc_lo, s7
	s_or_b32 s3, s3, s1
	s_delay_alu instid0(SALU_CYCLE_1) | instskip(NEXT) | instid1(SALU_CYCLE_1)
	s_xor_b32 s3, s3, -1
	s_and_saveexec_b32 s4, s3
	s_cbranch_execz .LBB13_24
; %bb.23:                               ;   in Loop: Header=BB13_9 Depth=2
	v_mad_u64_u32 v[32:33], null, v26, s30, 0
	s_delay_alu instid0(VALU_DEP_1) | instskip(NEXT) | instid1(VALU_DEP_1)
	v_add3_u32 v33, v33, v58, v59
	v_lshlrev_b64 v[32:33], 1, v[32:33]
	s_delay_alu instid0(VALU_DEP_1) | instskip(NEXT) | instid1(VALU_DEP_1)
	v_add_co_u32 v30, s3, v30, v32
	v_add_co_ci_u32_e64 v31, s3, v31, v33, s3
	global_load_u16 v53, v[30:31], off
.LBB13_24:                              ;   in Loop: Header=BB13_9 Depth=2
	s_or_b32 exec_lo, exec_lo, s4
	v_add_nc_u32_e32 v30, s42, v14
	s_delay_alu instid0(VALU_DEP_1) | instskip(SKIP_2) | instid1(VALU_DEP_3)
	v_ashrrev_i32_e32 v31, 31, v30
	v_mul_lo_u32 v50, v30, s29
	v_mad_u64_u32 v[32:33], null, v30, s28, 0
	v_mul_lo_u32 v51, v31, s28
	v_cmp_le_i64_e64 s3, v[16:17], v[30:31]
	s_delay_alu instid0(VALU_DEP_1) | instskip(NEXT) | instid1(VALU_DEP_2)
	s_or_b32 s8, s3, s5
	v_add3_u32 v33, v33, v50, v51
	s_delay_alu instid0(VALU_DEP_1) | instskip(NEXT) | instid1(VALU_DEP_1)
	v_lshlrev_b64 v[32:33], 1, v[32:33]
	v_add_co_u32 v32, s4, v38, v32
	s_delay_alu instid0(VALU_DEP_1) | instskip(SKIP_1) | instid1(SALU_CYCLE_1)
	v_add_co_ci_u32_e64 v33, s4, v39, v33, s4
	s_or_b32 s4, s8, s1
	s_xor_b32 s4, s4, -1
	s_delay_alu instid0(SALU_CYCLE_1)
	s_and_saveexec_b32 s8, s4
	s_cbranch_execz .LBB13_26
; %bb.25:                               ;   in Loop: Header=BB13_9 Depth=2
	v_mad_u64_u32 v[49:50], null, v22, s30, 0
	s_delay_alu instid0(VALU_DEP_1) | instskip(NEXT) | instid1(VALU_DEP_1)
	v_add3_u32 v50, v50, v35, v34
	v_lshlrev_b64 v[49:50], 1, v[49:50]
	s_delay_alu instid0(VALU_DEP_1) | instskip(NEXT) | instid1(VALU_DEP_1)
	v_add_co_u32 v49, s4, v32, v49
	v_add_co_ci_u32_e64 v50, s4, v33, v50, s4
	global_load_u16 v49, v[49:50], off
.LBB13_26:                              ;   in Loop: Header=BB13_9 Depth=2
	s_or_b32 exec_lo, exec_lo, s8
	s_or_b32 s4, s3, s6
	v_dual_mov_b32 v50, 0 :: v_dual_mov_b32 v55, 0
	s_or_b32 s4, s4, s1
	s_delay_alu instid0(SALU_CYCLE_1) | instskip(NEXT) | instid1(SALU_CYCLE_1)
	s_xor_b32 s4, s4, -1
	s_and_saveexec_b32 s8, s4
	s_cbranch_execz .LBB13_28
; %bb.27:                               ;   in Loop: Header=BB13_9 Depth=2
	v_mad_u64_u32 v[55:56], null, v24, s30, 0
	s_delay_alu instid0(VALU_DEP_1) | instskip(NEXT) | instid1(VALU_DEP_1)
	v_add3_u32 v56, v56, v57, v54
	v_lshlrev_b64 v[55:56], 1, v[55:56]
	s_delay_alu instid0(VALU_DEP_1) | instskip(NEXT) | instid1(VALU_DEP_1)
	v_add_co_u32 v55, s4, v32, v55
	v_add_co_ci_u32_e64 v56, s4, v33, v56, s4
	global_load_u16 v55, v[55:56], off
.LBB13_28:                              ;   in Loop: Header=BB13_9 Depth=2
	s_or_b32 exec_lo, exec_lo, s8
	s_or_b32 s4, s3, s7
	s_delay_alu instid0(SALU_CYCLE_1) | instskip(NEXT) | instid1(SALU_CYCLE_1)
	s_or_b32 s4, s4, s1
	s_xor_b32 s4, s4, -1
	s_delay_alu instid0(SALU_CYCLE_1)
	s_and_saveexec_b32 s8, s4
	s_cbranch_execz .LBB13_30
; %bb.29:                               ;   in Loop: Header=BB13_9 Depth=2
	v_mad_u64_u32 v[50:51], null, v26, s30, 0
	s_delay_alu instid0(VALU_DEP_1) | instskip(NEXT) | instid1(VALU_DEP_1)
	v_add3_u32 v51, v51, v58, v59
	v_lshlrev_b64 v[50:51], 1, v[50:51]
	s_delay_alu instid0(VALU_DEP_1) | instskip(NEXT) | instid1(VALU_DEP_1)
	v_add_co_u32 v32, s4, v32, v50
	v_add_co_ci_u32_e64 v33, s4, v33, v51, s4
	global_load_u16 v50, v[32:33], off
.LBB13_30:                              ;   in Loop: Header=BB13_9 Depth=2
	s_or_b32 exec_lo, exec_lo, s8
	v_add_nc_u32_e32 v32, s42, v30
	s_delay_alu instid0(VALU_DEP_1) | instskip(SKIP_2) | instid1(VALU_DEP_3)
	v_ashrrev_i32_e32 v33, 31, v32
	v_mul_lo_u32 v51, v32, s29
	v_mad_u64_u32 v[60:61], null, v32, s28, 0
	v_mul_lo_u32 v56, v33, s28
	s_delay_alu instid0(VALU_DEP_1) | instskip(SKIP_3) | instid1(VALU_DEP_4)
	v_add3_u32 v61, v61, v51, v56
	v_mov_b32_e32 v51, 0
	v_cmp_le_i64_e64 s4, v[16:17], v[32:33]
	v_mov_b32_e32 v56, 0
	v_lshlrev_b64 v[60:61], 1, v[60:61]
	s_delay_alu instid0(VALU_DEP_3) | instskip(NEXT) | instid1(VALU_DEP_1)
	s_or_b32 s64, s4, s5
	v_add_co_u32 v60, s8, v38, v60
	s_delay_alu instid0(VALU_DEP_1) | instskip(SKIP_1) | instid1(SALU_CYCLE_1)
	v_add_co_ci_u32_e64 v61, s8, v39, v61, s8
	s_or_b32 s8, s64, s1
	s_xor_b32 s8, s8, -1
	s_delay_alu instid0(SALU_CYCLE_1)
	s_and_saveexec_b32 s64, s8
	s_cbranch_execz .LBB13_32
; %bb.31:                               ;   in Loop: Header=BB13_9 Depth=2
	v_mad_u64_u32 v[62:63], null, v22, s30, 0
	s_delay_alu instid0(VALU_DEP_1) | instskip(NEXT) | instid1(VALU_DEP_1)
	v_add3_u32 v63, v63, v35, v34
	v_lshlrev_b64 v[34:35], 1, v[62:63]
	s_delay_alu instid0(VALU_DEP_1) | instskip(NEXT) | instid1(VALU_DEP_1)
	v_add_co_u32 v34, s8, v60, v34
	v_add_co_ci_u32_e64 v35, s8, v61, v35, s8
	global_load_u16 v56, v[34:35], off
.LBB13_32:                              ;   in Loop: Header=BB13_9 Depth=2
	s_or_b32 exec_lo, exec_lo, s64
	s_or_b32 s8, s4, s6
	s_delay_alu instid0(SALU_CYCLE_1) | instskip(NEXT) | instid1(SALU_CYCLE_1)
	s_or_b32 s8, s8, s1
	s_xor_b32 s8, s8, -1
	s_delay_alu instid0(SALU_CYCLE_1)
	s_and_saveexec_b32 s64, s8
	s_cbranch_execz .LBB13_34
; %bb.33:                               ;   in Loop: Header=BB13_9 Depth=2
	v_mad_u64_u32 v[34:35], null, v24, s30, 0
	s_delay_alu instid0(VALU_DEP_1) | instskip(NEXT) | instid1(VALU_DEP_1)
	v_add3_u32 v35, v35, v57, v54
	v_lshlrev_b64 v[34:35], 1, v[34:35]
	s_delay_alu instid0(VALU_DEP_1) | instskip(NEXT) | instid1(VALU_DEP_1)
	v_add_co_u32 v34, s8, v60, v34
	v_add_co_ci_u32_e64 v35, s8, v61, v35, s8
	global_load_u16 v51, v[34:35], off
.LBB13_34:                              ;   in Loop: Header=BB13_9 Depth=2
	s_or_b32 exec_lo, exec_lo, s64
	s_or_b32 s8, s4, s7
	v_mov_b32_e32 v54, 0
	s_or_b32 s8, s8, s1
	s_delay_alu instid0(SALU_CYCLE_1) | instskip(NEXT) | instid1(SALU_CYCLE_1)
	s_xor_b32 s8, s8, -1
	s_and_saveexec_b32 s64, s8
	s_cbranch_execz .LBB13_36
; %bb.35:                               ;   in Loop: Header=BB13_9 Depth=2
	v_mad_u64_u32 v[34:35], null, v26, s30, 0
	s_delay_alu instid0(VALU_DEP_1) | instskip(NEXT) | instid1(VALU_DEP_1)
	v_add3_u32 v35, v35, v58, v59
	v_lshlrev_b64 v[34:35], 1, v[34:35]
	s_delay_alu instid0(VALU_DEP_1) | instskip(NEXT) | instid1(VALU_DEP_1)
	v_add_co_u32 v34, s8, v60, v34
	v_add_co_ci_u32_e64 v35, s8, v61, v35, s8
	global_load_u16 v54, v[34:35], off
.LBB13_36:                              ;   in Loop: Header=BB13_9 Depth=2
	s_or_b32 exec_lo, exec_lo, s64
	v_mul_lo_u32 v29, v29, s20
	v_mul_lo_u32 v57, v28, s21
	v_mad_u64_u32 v[34:35], null, v28, s20, 0
	s_or_b32 s64, s1, s5
	s_delay_alu instid0(SALU_CYCLE_1) | instskip(NEXT) | instid1(SALU_CYCLE_1)
	s_or_b32 s5, vcc_lo, s64
	s_xor_b32 s5, s5, -1
	s_delay_alu instid0(VALU_DEP_1)
	v_add3_u32 v28, v35, v57, v29
	s_and_saveexec_b32 s65, s5
	s_cbranch_execz .LBB13_39
; %bb.37:                               ;   in Loop: Header=BB13_9 Depth=2
	ds_load_u16 v29, v40
	s_waitcnt vmcnt(0)
	v_lshlrev_b32_e32 v35, 16, v52
	s_delay_alu instid0(VALU_DEP_1) | instskip(SKIP_2) | instid1(VALU_DEP_1)
	v_cmp_u_f32_e64 s8, v35, v35
	s_waitcnt lgkmcnt(0)
	v_lshlrev_b32_e32 v29, 16, v29
	v_cmp_gt_f32_e64 s5, v35, v29
	s_delay_alu instid0(VALU_DEP_1) | instskip(NEXT) | instid1(SALU_CYCLE_1)
	s_or_b32 s5, s8, s5
	s_and_b32 exec_lo, exec_lo, s5
	s_cbranch_execz .LBB13_39
; %bb.38:                               ;   in Loop: Header=BB13_9 Depth=2
	v_add_co_u32 v57, s5, v34, v22
	s_delay_alu instid0(VALU_DEP_1)
	v_add_co_ci_u32_e64 v58, s5, v28, v23, s5
	ds_store_b16 v40, v52
	ds_store_b64 v41, v[57:58]
.LBB13_39:                              ;   in Loop: Header=BB13_9 Depth=2
	s_or_b32 exec_lo, exec_lo, s65
	s_or_b32 s8, s1, s6
	s_delay_alu instid0(SALU_CYCLE_1) | instskip(NEXT) | instid1(SALU_CYCLE_1)
	s_or_b32 s5, vcc_lo, s8
	s_xor_b32 s5, s5, -1
	s_delay_alu instid0(SALU_CYCLE_1)
	s_and_saveexec_b32 s65, s5
	s_cbranch_execz .LBB13_42
; %bb.40:                               ;   in Loop: Header=BB13_9 Depth=2
	ds_load_u16 v29, v40
	s_waitcnt vmcnt(0)
	v_lshlrev_b32_e32 v35, 16, v48
	s_delay_alu instid0(VALU_DEP_1) | instskip(SKIP_2) | instid1(VALU_DEP_1)
	v_cmp_u_f32_e64 s6, v35, v35
	s_waitcnt lgkmcnt(0)
	v_lshlrev_b32_e32 v29, 16, v29
	v_cmp_gt_f32_e64 s5, v35, v29
	s_delay_alu instid0(VALU_DEP_1) | instskip(NEXT) | instid1(SALU_CYCLE_1)
	s_or_b32 s5, s6, s5
	s_and_b32 exec_lo, exec_lo, s5
	s_cbranch_execz .LBB13_42
; %bb.41:                               ;   in Loop: Header=BB13_9 Depth=2
	v_add_co_u32 v57, s5, v34, v24
	s_delay_alu instid0(VALU_DEP_1)
	v_add_co_ci_u32_e64 v58, s5, v28, v25, s5
	ds_store_b16 v40, v48
	ds_store_b64 v41, v[57:58]
.LBB13_42:                              ;   in Loop: Header=BB13_9 Depth=2
	s_or_b32 exec_lo, exec_lo, s65
	s_or_b32 s6, s1, s7
	s_delay_alu instid0(SALU_CYCLE_1) | instskip(NEXT) | instid1(SALU_CYCLE_1)
	s_or_b32 s5, vcc_lo, s6
	s_xor_b32 s5, s5, -1
	s_delay_alu instid0(SALU_CYCLE_1)
	s_and_saveexec_b32 s7, s5
	s_cbranch_execz .LBB13_45
; %bb.43:                               ;   in Loop: Header=BB13_9 Depth=2
	ds_load_u16 v29, v40
	s_waitcnt vmcnt(0)
	v_lshlrev_b32_e32 v35, 16, v53
	s_delay_alu instid0(VALU_DEP_1) | instskip(SKIP_2) | instid1(VALU_DEP_1)
	v_cmp_u_f32_e64 s5, v35, v35
	s_waitcnt lgkmcnt(0)
	v_lshlrev_b32_e32 v29, 16, v29
	v_cmp_gt_f32_e32 vcc_lo, v35, v29
	s_delay_alu instid0(VALU_DEP_3) | instskip(NEXT) | instid1(SALU_CYCLE_1)
	s_or_b32 s5, s5, vcc_lo
	s_and_b32 exec_lo, exec_lo, s5
	s_cbranch_execz .LBB13_45
; %bb.44:                               ;   in Loop: Header=BB13_9 Depth=2
	v_add_co_u32 v34, vcc_lo, v34, v26
	v_add_co_ci_u32_e32 v35, vcc_lo, v28, v27, vcc_lo
	ds_store_b16 v40, v53
	ds_store_b64 v41, v[34:35]
.LBB13_45:                              ;   in Loop: Header=BB13_9 Depth=2
	s_or_b32 exec_lo, exec_lo, s7
	v_mul_lo_u32 v31, v31, s20
	v_mul_lo_u32 v34, v30, s21
	v_mad_u64_u32 v[28:29], null, v30, s20, 0
	s_or_b32 s5, s3, s64
	s_delay_alu instid0(SALU_CYCLE_1) | instskip(NEXT) | instid1(VALU_DEP_1)
	s_xor_b32 s5, s5, -1
	v_add3_u32 v29, v29, v34, v31
	s_and_saveexec_b32 s7, s5
	s_cbranch_execz .LBB13_48
; %bb.46:                               ;   in Loop: Header=BB13_9 Depth=2
	ds_load_u16 v30, v40
	s_waitcnt vmcnt(0)
	v_lshlrev_b32_e32 v31, 16, v49
	s_delay_alu instid0(VALU_DEP_1) | instskip(SKIP_2) | instid1(VALU_DEP_1)
	v_cmp_u_f32_e64 s5, v31, v31
	s_waitcnt lgkmcnt(0)
	v_lshlrev_b32_e32 v30, 16, v30
	v_cmp_gt_f32_e32 vcc_lo, v31, v30
	s_delay_alu instid0(VALU_DEP_3) | instskip(NEXT) | instid1(SALU_CYCLE_1)
	s_or_b32 s5, s5, vcc_lo
	s_and_b32 exec_lo, exec_lo, s5
	s_cbranch_execz .LBB13_48
; %bb.47:                               ;   in Loop: Header=BB13_9 Depth=2
	v_add_co_u32 v30, vcc_lo, v28, v22
	v_add_co_ci_u32_e32 v31, vcc_lo, v29, v23, vcc_lo
	ds_store_b16 v40, v49
	ds_store_b64 v41, v[30:31]
.LBB13_48:                              ;   in Loop: Header=BB13_9 Depth=2
	s_or_b32 exec_lo, exec_lo, s7
	s_or_b32 s5, s3, s8
	s_delay_alu instid0(SALU_CYCLE_1) | instskip(NEXT) | instid1(SALU_CYCLE_1)
	s_xor_b32 s5, s5, -1
	s_and_saveexec_b32 s7, s5
	s_cbranch_execz .LBB13_51
; %bb.49:                               ;   in Loop: Header=BB13_9 Depth=2
	ds_load_u16 v30, v40
	s_waitcnt vmcnt(0)
	v_lshlrev_b32_e32 v31, 16, v55
	s_delay_alu instid0(VALU_DEP_1) | instskip(SKIP_2) | instid1(VALU_DEP_1)
	v_cmp_u_f32_e64 s5, v31, v31
	s_waitcnt lgkmcnt(0)
	v_lshlrev_b32_e32 v30, 16, v30
	v_cmp_gt_f32_e32 vcc_lo, v31, v30
	s_delay_alu instid0(VALU_DEP_3) | instskip(NEXT) | instid1(SALU_CYCLE_1)
	s_or_b32 s5, s5, vcc_lo
	s_and_b32 exec_lo, exec_lo, s5
	s_cbranch_execz .LBB13_51
; %bb.50:                               ;   in Loop: Header=BB13_9 Depth=2
	v_add_co_u32 v30, vcc_lo, v28, v24
	v_add_co_ci_u32_e32 v31, vcc_lo, v29, v25, vcc_lo
	ds_store_b16 v40, v55
	ds_store_b64 v41, v[30:31]
.LBB13_51:                              ;   in Loop: Header=BB13_9 Depth=2
	s_or_b32 exec_lo, exec_lo, s7
	s_or_b32 s3, s3, s6
	s_delay_alu instid0(SALU_CYCLE_1) | instskip(NEXT) | instid1(SALU_CYCLE_1)
	s_xor_b32 s3, s3, -1
	s_and_saveexec_b32 s5, s3
	s_cbranch_execz .LBB13_54
; %bb.52:                               ;   in Loop: Header=BB13_9 Depth=2
	ds_load_u16 v30, v40
	s_waitcnt vmcnt(0)
	v_lshlrev_b32_e32 v31, 16, v50
	s_delay_alu instid0(VALU_DEP_1) | instskip(SKIP_2) | instid1(VALU_DEP_1)
	v_cmp_u_f32_e64 s3, v31, v31
	s_waitcnt lgkmcnt(0)
	v_lshlrev_b32_e32 v30, 16, v30
	v_cmp_gt_f32_e32 vcc_lo, v31, v30
	s_delay_alu instid0(VALU_DEP_3) | instskip(NEXT) | instid1(SALU_CYCLE_1)
	s_or_b32 s3, s3, vcc_lo
	s_and_b32 exec_lo, exec_lo, s3
	s_cbranch_execz .LBB13_54
; %bb.53:                               ;   in Loop: Header=BB13_9 Depth=2
	v_add_co_u32 v28, vcc_lo, v28, v26
	v_add_co_ci_u32_e32 v29, vcc_lo, v29, v27, vcc_lo
	ds_store_b16 v40, v50
	ds_store_b64 v41, v[28:29]
.LBB13_54:                              ;   in Loop: Header=BB13_9 Depth=2
	s_or_b32 exec_lo, exec_lo, s5
	v_mul_lo_u32 v30, v33, s20
	v_mul_lo_u32 v31, v32, s21
	v_mad_u64_u32 v[28:29], null, v32, s20, 0
	s_or_b32 s3, s4, s64
	s_delay_alu instid0(SALU_CYCLE_1) | instskip(NEXT) | instid1(VALU_DEP_1)
	s_xor_b32 s3, s3, -1
	v_add3_u32 v29, v29, v31, v30
	s_and_saveexec_b32 s5, s3
	s_cbranch_execz .LBB13_57
; %bb.55:                               ;   in Loop: Header=BB13_9 Depth=2
	ds_load_u16 v30, v40
	s_waitcnt vmcnt(0)
	v_lshlrev_b32_e32 v31, 16, v56
	s_delay_alu instid0(VALU_DEP_1) | instskip(SKIP_2) | instid1(VALU_DEP_1)
	v_cmp_u_f32_e64 s3, v31, v31
	s_waitcnt lgkmcnt(0)
	v_lshlrev_b32_e32 v30, 16, v30
	v_cmp_gt_f32_e32 vcc_lo, v31, v30
	s_delay_alu instid0(VALU_DEP_3) | instskip(NEXT) | instid1(SALU_CYCLE_1)
	s_or_b32 s3, s3, vcc_lo
	s_and_b32 exec_lo, exec_lo, s3
	s_cbranch_execz .LBB13_57
; %bb.56:                               ;   in Loop: Header=BB13_9 Depth=2
	v_add_co_u32 v22, vcc_lo, v28, v22
	v_add_co_ci_u32_e32 v23, vcc_lo, v29, v23, vcc_lo
	ds_store_b16 v40, v56
	ds_store_b64 v41, v[22:23]
.LBB13_57:                              ;   in Loop: Header=BB13_9 Depth=2
	s_or_b32 exec_lo, exec_lo, s5
	s_or_b32 s3, s4, s8
	s_delay_alu instid0(SALU_CYCLE_1) | instskip(NEXT) | instid1(SALU_CYCLE_1)
	s_xor_b32 s3, s3, -1
	s_and_saveexec_b32 s5, s3
	s_cbranch_execz .LBB13_60
; %bb.58:                               ;   in Loop: Header=BB13_9 Depth=2
	ds_load_u16 v22, v40
	s_waitcnt vmcnt(0)
	v_lshlrev_b32_e32 v23, 16, v51
	s_delay_alu instid0(VALU_DEP_1) | instskip(SKIP_2) | instid1(VALU_DEP_1)
	v_cmp_u_f32_e64 s3, v23, v23
	s_waitcnt lgkmcnt(0)
	v_lshlrev_b32_e32 v22, 16, v22
	v_cmp_gt_f32_e32 vcc_lo, v23, v22
	s_delay_alu instid0(VALU_DEP_3) | instskip(NEXT) | instid1(SALU_CYCLE_1)
	s_or_b32 s3, s3, vcc_lo
	s_and_b32 exec_lo, exec_lo, s3
	s_cbranch_execz .LBB13_60
; %bb.59:                               ;   in Loop: Header=BB13_9 Depth=2
	v_add_co_u32 v22, vcc_lo, v28, v24
	v_add_co_ci_u32_e32 v23, vcc_lo, v29, v25, vcc_lo
	ds_store_b16 v40, v51
	ds_store_b64 v41, v[22:23]
.LBB13_60:                              ;   in Loop: Header=BB13_9 Depth=2
	s_or_b32 exec_lo, exec_lo, s5
	s_or_b32 s3, s4, s6
	s_delay_alu instid0(SALU_CYCLE_1) | instskip(NEXT) | instid1(SALU_CYCLE_1)
	s_xor_b32 s3, s3, -1
	s_and_saveexec_b32 s4, s3
	s_cbranch_execz .LBB13_63
; %bb.61:                               ;   in Loop: Header=BB13_9 Depth=2
	ds_load_u16 v22, v40
	s_waitcnt vmcnt(0)
	v_lshlrev_b32_e32 v23, 16, v54
	s_delay_alu instid0(VALU_DEP_1) | instskip(SKIP_2) | instid1(VALU_DEP_1)
	v_cmp_u_f32_e64 s3, v23, v23
	s_waitcnt lgkmcnt(0)
	v_lshlrev_b32_e32 v22, 16, v22
	v_cmp_gt_f32_e32 vcc_lo, v23, v22
	s_delay_alu instid0(VALU_DEP_3) | instskip(NEXT) | instid1(SALU_CYCLE_1)
	s_or_b32 s3, s3, vcc_lo
	s_and_b32 exec_lo, exec_lo, s3
	s_cbranch_execz .LBB13_63
; %bb.62:                               ;   in Loop: Header=BB13_9 Depth=2
	v_add_co_u32 v22, vcc_lo, v28, v26
	v_add_co_ci_u32_e32 v23, vcc_lo, v29, v27, vcc_lo
	ds_store_b16 v40, v54
	ds_store_b64 v41, v[22:23]
.LBB13_63:                              ;   in Loop: Header=BB13_9 Depth=2
	s_or_b32 exec_lo, exec_lo, s4
	s_branch .LBB13_17
.LBB13_64:                              ;   in Loop: Header=BB13_9 Depth=2
	s_mov_b32 s5, exec_lo
	v_cmpx_lt_i64_e64 v[14:15], v[16:17]
	s_cbranch_execz .LBB13_75
; %bb.65:                               ;   in Loop: Header=BB13_9 Depth=2
	v_cmp_lt_i64_e32 vcc_lo, v[18:19], v[20:21]
	v_dual_mov_b32 v23, v15 :: v_dual_mov_b32 v22, v14
	s_mov_b32 s6, 0
	s_branch .LBB13_67
.LBB13_66:                              ;   in Loop: Header=BB13_67 Depth=3
	s_or_b32 exec_lo, exec_lo, s7
	v_add_co_u32 v22, s3, v22, s12
	s_delay_alu instid0(VALU_DEP_1) | instskip(NEXT) | instid1(VALU_DEP_1)
	v_add_co_ci_u32_e64 v23, s3, s13, v23, s3
	v_cmp_ge_i64_e64 s3, v[22:23], v[16:17]
	s_delay_alu instid0(VALU_DEP_1) | instskip(NEXT) | instid1(SALU_CYCLE_1)
	s_or_b32 s6, s3, s6
	s_and_not1_b32 exec_lo, exec_lo, s6
	s_cbranch_execz .LBB13_75
.LBB13_67:                              ;   Parent Loop BB13_6 Depth=1
                                        ;     Parent Loop BB13_9 Depth=2
                                        ; =>    This Loop Header: Depth=3
                                        ;         Child Loop BB13_70 Depth 4
                                        ;           Child Loop BB13_73 Depth 5
	s_and_saveexec_b32 s7, vcc_lo
	s_cbranch_execz .LBB13_66
; %bb.68:                               ;   in Loop: Header=BB13_67 Depth=3
	v_mul_lo_u32 v24, v23, s28
	v_mul_lo_u32 v25, v22, s29
	v_mad_u64_u32 v[26:27], null, v22, s28, 0
	v_mul_lo_u32 v28, v23, s20
	v_mul_lo_u32 v29, v22, s21
	s_mov_b32 s8, 0
	s_delay_alu instid0(VALU_DEP_3) | instskip(SKIP_1) | instid1(VALU_DEP_2)
	v_add3_u32 v27, v27, v25, v24
	v_mad_u64_u32 v[24:25], null, v22, s20, 0
	v_lshlrev_b64 v[26:27], 1, v[26:27]
	s_delay_alu instid0(VALU_DEP_2) | instskip(NEXT) | instid1(VALU_DEP_2)
	v_add3_u32 v25, v25, v29, v28
	v_add_co_u32 v34, s3, s47, v26
	s_delay_alu instid0(VALU_DEP_1)
	v_add_co_ci_u32_e64 v35, s3, s48, v27, s3
	v_dual_mov_b32 v27, v19 :: v_dual_mov_b32 v26, v18
	s_branch .LBB13_70
.LBB13_69:                              ;   in Loop: Header=BB13_70 Depth=4
	s_set_inst_prefetch_distance 0x2
	s_or_b32 exec_lo, exec_lo, s64
	v_add_co_u32 v26, s3, v26, s57
	s_delay_alu instid0(VALU_DEP_1) | instskip(NEXT) | instid1(VALU_DEP_1)
	v_add_co_ci_u32_e64 v27, s3, s56, v27, s3
	v_cmp_ge_i64_e64 s3, v[26:27], v[20:21]
	s_delay_alu instid0(VALU_DEP_1) | instskip(NEXT) | instid1(SALU_CYCLE_1)
	s_or_b32 s8, s3, s8
	s_and_not1_b32 exec_lo, exec_lo, s8
	s_cbranch_execz .LBB13_66
.LBB13_70:                              ;   Parent Loop BB13_6 Depth=1
                                        ;     Parent Loop BB13_9 Depth=2
                                        ;       Parent Loop BB13_67 Depth=3
                                        ; =>      This Loop Header: Depth=4
                                        ;           Child Loop BB13_73 Depth 5
	s_and_saveexec_b32 s64, s2
	s_cbranch_execz .LBB13_69
; %bb.71:                               ;   in Loop: Header=BB13_70 Depth=4
	s_delay_alu instid0(VALU_DEP_1)
	v_mul_lo_u32 v30, v27, s30
	v_mul_lo_u32 v31, v26, s31
	v_mad_u64_u32 v[28:29], null, v26, s30, 0
	s_waitcnt vmcnt(0)
	v_dual_mov_b32 v48, v43 :: v_dual_mov_b32 v49, v42
	s_mov_b32 s65, 0
	s_delay_alu instid0(VALU_DEP_2) | instskip(SKIP_1) | instid1(VALU_DEP_2)
	v_add3_u32 v29, v29, v31, v30
	v_dual_mov_b32 v31, v5 :: v_dual_mov_b32 v30, v4
	v_lshlrev_b64 v[32:33], 1, v[28:29]
	v_add_co_u32 v28, s3, v26, v24
	s_delay_alu instid0(VALU_DEP_1) | instskip(NEXT) | instid1(VALU_DEP_3)
	v_add_co_ci_u32_e64 v29, s3, v27, v25, s3
	v_add_co_u32 v50, s3, v34, v32
	s_delay_alu instid0(VALU_DEP_1)
	v_add_co_ci_u32_e64 v51, s3, v35, v33, s3
	v_dual_mov_b32 v33, v2 :: v_dual_mov_b32 v32, v1
	s_set_inst_prefetch_distance 0x1
	s_branch .LBB13_73
	.p2align	6
.LBB13_72:                              ;   in Loop: Header=BB13_73 Depth=5
	s_or_b32 exec_lo, exec_lo, s3
	v_add_co_u32 v32, s3, v32, s24
	s_delay_alu instid0(VALU_DEP_1) | instskip(SKIP_1) | instid1(VALU_DEP_1)
	v_add_co_ci_u32_e64 v33, s3, s25, v33, s3
	v_add_co_u32 v30, s4, v30, s45
	v_add_co_ci_u32_e64 v31, s4, s44, v31, s4
	s_delay_alu instid0(VALU_DEP_3) | instskip(SKIP_2) | instid1(VALU_DEP_3)
	v_cmp_le_i64_e64 s3, s[16:17], v[32:33]
	v_add_nc_u32_e32 v49, s61, v49
	v_add_nc_u32_e32 v48, s62, v48
	s_or_b32 s65, s3, s65
	s_delay_alu instid0(SALU_CYCLE_1)
	s_and_not1_b32 exec_lo, exec_lo, s65
	s_cbranch_execz .LBB13_69
.LBB13_73:                              ;   Parent Loop BB13_6 Depth=1
                                        ;     Parent Loop BB13_9 Depth=2
                                        ;       Parent Loop BB13_67 Depth=3
                                        ;         Parent Loop BB13_70 Depth=4
                                        ; =>        This Inner Loop Header: Depth=5
	v_lshlrev_b64 v[52:53], 1, v[30:31]
	s_delay_alu instid0(VALU_DEP_1) | instskip(NEXT) | instid1(VALU_DEP_1)
	v_add_co_u32 v52, s3, v50, v52
	v_add_co_ci_u32_e64 v53, s3, v51, v53, s3
	global_load_u16 v52, v[52:53], off
	ds_load_u16 v53, v49
	s_waitcnt lgkmcnt(0)
	v_lshlrev_b32_e32 v53, 16, v53
	s_waitcnt vmcnt(0)
	v_lshlrev_b32_e32 v54, 16, v52
	s_delay_alu instid0(VALU_DEP_1) | instskip(SKIP_1) | instid1(VALU_DEP_1)
	v_cmp_gt_f32_e64 s3, v54, v53
	v_cmp_u_f32_e64 s4, v54, v54
	s_or_b32 s4, s4, s3
	s_delay_alu instid0(SALU_CYCLE_1)
	s_and_saveexec_b32 s3, s4
	s_cbranch_execz .LBB13_72
; %bb.74:                               ;   in Loop: Header=BB13_73 Depth=5
	ds_store_b16 v49, v52
	ds_store_b64 v48, v[28:29]
	s_branch .LBB13_72
.LBB13_75:                              ;   in Loop: Header=BB13_9 Depth=2
	s_or_b32 exec_lo, exec_lo, s5
	s_and_saveexec_b32 s4, s2
	s_cbranch_execz .LBB13_8
.LBB13_76:                              ;   in Loop: Header=BB13_9 Depth=2
	v_add_co_u32 v18, vcc_lo, v12, v47
	v_add_co_ci_u32_e32 v19, vcc_lo, v13, v11, vcc_lo
	v_mov_b32_e32 v24, v43
	s_mov_b32 s5, 0
	s_delay_alu instid0(VALU_DEP_2) | instskip(SKIP_1) | instid1(VALU_DEP_2)
	v_lshlrev_b64 v[20:21], 3, v[18:19]
	v_lshlrev_b64 v[18:19], 1, v[18:19]
	v_add_co_u32 v11, vcc_lo, s10, v20
	s_delay_alu instid0(VALU_DEP_3) | instskip(NEXT) | instid1(VALU_DEP_3)
	v_add_co_ci_u32_e32 v20, vcc_lo, s11, v21, vcc_lo
	v_add_co_u32 v22, vcc_lo, s26, v18
	s_delay_alu instid0(VALU_DEP_4) | instskip(NEXT) | instid1(VALU_DEP_3)
	v_add_co_ci_u32_e32 v21, vcc_lo, s27, v19, vcc_lo
	v_mul_lo_u32 v23, s16, v20
	v_mul_lo_u32 v25, s17, v11
	v_mad_u64_u32 v[18:19], null, s16, v11, v[6:7]
	s_delay_alu instid0(VALU_DEP_4) | instskip(SKIP_2) | instid1(VALU_DEP_4)
	v_mul_lo_u32 v11, s16, v21
	v_mul_lo_u32 v26, s17, v22
	v_mad_u64_u32 v[20:21], null, s16, v22, v[8:9]
	v_add3_u32 v19, v25, v19, v23
	v_mov_b32_e32 v25, v42
	v_dual_mov_b32 v23, v2 :: v_dual_mov_b32 v22, v1
	s_delay_alu instid0(VALU_DEP_4)
	v_add3_u32 v21, v26, v21, v11
	.p2align	6
.LBB13_77:                              ;   Parent Loop BB13_6 Depth=1
                                        ;     Parent Loop BB13_9 Depth=2
                                        ; =>    This Inner Loop Header: Depth=3
	ds_load_u16 v28, v25
	ds_load_b64 v[26:27], v24
	v_mov_b32_e32 v11, v10
	v_add_co_u32 v22, vcc_lo, v22, s24
	v_add_co_ci_u32_e32 v23, vcc_lo, s25, v23, vcc_lo
	ds_store_b16 v25, v46
	ds_store_b64 v24, v[10:11]
	v_add_nc_u32_e32 v24, s62, v24
	v_cmp_le_i64_e32 vcc_lo, s[16:17], v[22:23]
	v_add_nc_u32_e32 v25, s61, v25
	s_waitcnt lgkmcnt(3)
	global_store_b16 v[20:21], v28, off
	s_waitcnt lgkmcnt(2)
	global_store_b64 v[18:19], v[26:27], off
	v_add_co_u32 v18, s3, v18, s22
	s_delay_alu instid0(VALU_DEP_1) | instskip(SKIP_1) | instid1(VALU_DEP_1)
	v_add_co_ci_u32_e64 v19, s3, s23, v19, s3
	v_add_co_u32 v20, s3, v20, s36
	v_add_co_ci_u32_e64 v21, s3, s37, v21, s3
	s_or_b32 s5, vcc_lo, s5
	s_delay_alu instid0(SALU_CYCLE_1)
	s_and_not1_b32 exec_lo, exec_lo, s5
	s_cbranch_execnz .LBB13_77
	s_branch .LBB13_8
.LBB13_78:
	s_nop 0
	s_sendmsg sendmsg(MSG_DEALLOC_VGPRS)
	s_endpgm
	.section	.rodata,"a",@progbits
	.p2align	6, 0x0
	.amdhsa_kernel _ZN2at6native12_GLOBAL__N_121max_pool_forward_nhwcIN3c108BFloat16ElEEvPKT_iT0_S8_S8_S8_S8_iiiiiiiiS8_S8_S8_S8_iiPS5_Pl
		.amdhsa_group_segment_fixed_size 0
		.amdhsa_private_segment_fixed_size 0
		.amdhsa_kernarg_size 400
		.amdhsa_user_sgpr_count 13
		.amdhsa_user_sgpr_dispatch_ptr 0
		.amdhsa_user_sgpr_queue_ptr 0
		.amdhsa_user_sgpr_kernarg_segment_ptr 1
		.amdhsa_user_sgpr_dispatch_id 0
		.amdhsa_user_sgpr_private_segment_size 0
		.amdhsa_wavefront_size32 1
		.amdhsa_uses_dynamic_stack 0
		.amdhsa_enable_private_segment 0
		.amdhsa_system_sgpr_workgroup_id_x 1
		.amdhsa_system_sgpr_workgroup_id_y 1
		.amdhsa_system_sgpr_workgroup_id_z 1
		.amdhsa_system_sgpr_workgroup_info 0
		.amdhsa_system_vgpr_workitem_id 2
		.amdhsa_next_free_vgpr 64
		.amdhsa_next_free_sgpr 66
		.amdhsa_reserve_vcc 1
		.amdhsa_float_round_mode_32 0
		.amdhsa_float_round_mode_16_64 0
		.amdhsa_float_denorm_mode_32 3
		.amdhsa_float_denorm_mode_16_64 3
		.amdhsa_dx10_clamp 1
		.amdhsa_ieee_mode 1
		.amdhsa_fp16_overflow 0
		.amdhsa_workgroup_processor_mode 1
		.amdhsa_memory_ordered 1
		.amdhsa_forward_progress 0
		.amdhsa_shared_vgpr_count 0
		.amdhsa_exception_fp_ieee_invalid_op 0
		.amdhsa_exception_fp_denorm_src 0
		.amdhsa_exception_fp_ieee_div_zero 0
		.amdhsa_exception_fp_ieee_overflow 0
		.amdhsa_exception_fp_ieee_underflow 0
		.amdhsa_exception_fp_ieee_inexact 0
		.amdhsa_exception_int_div_zero 0
	.end_amdhsa_kernel
	.section	.text._ZN2at6native12_GLOBAL__N_121max_pool_forward_nhwcIN3c108BFloat16ElEEvPKT_iT0_S8_S8_S8_S8_iiiiiiiiS8_S8_S8_S8_iiPS5_Pl,"axG",@progbits,_ZN2at6native12_GLOBAL__N_121max_pool_forward_nhwcIN3c108BFloat16ElEEvPKT_iT0_S8_S8_S8_S8_iiiiiiiiS8_S8_S8_S8_iiPS5_Pl,comdat
.Lfunc_end13:
	.size	_ZN2at6native12_GLOBAL__N_121max_pool_forward_nhwcIN3c108BFloat16ElEEvPKT_iT0_S8_S8_S8_S8_iiiiiiiiS8_S8_S8_S8_iiPS5_Pl, .Lfunc_end13-_ZN2at6native12_GLOBAL__N_121max_pool_forward_nhwcIN3c108BFloat16ElEEvPKT_iT0_S8_S8_S8_S8_iiiiiiiiS8_S8_S8_S8_iiPS5_Pl
                                        ; -- End function
	.section	.AMDGPU.csdata,"",@progbits
; Kernel info:
; codeLenInByte = 5740
; NumSgprs: 68
; NumVgprs: 64
; ScratchSize: 0
; MemoryBound: 0
; FloatMode: 240
; IeeeMode: 1
; LDSByteSize: 0 bytes/workgroup (compile time only)
; SGPRBlocks: 8
; VGPRBlocks: 7
; NumSGPRsForWavesPerEU: 68
; NumVGPRsForWavesPerEU: 64
; Occupancy: 16
; WaveLimiterHint : 1
; COMPUTE_PGM_RSRC2:SCRATCH_EN: 0
; COMPUTE_PGM_RSRC2:USER_SGPR: 13
; COMPUTE_PGM_RSRC2:TRAP_HANDLER: 0
; COMPUTE_PGM_RSRC2:TGID_X_EN: 1
; COMPUTE_PGM_RSRC2:TGID_Y_EN: 1
; COMPUTE_PGM_RSRC2:TGID_Z_EN: 1
; COMPUTE_PGM_RSRC2:TIDIG_COMP_CNT: 2
	.section	.text._ZN2at6native12_GLOBAL__N_121max_pool_forward_nchwIN3c108BFloat16EiEEvT0_PKT_llliiiiiiiiiiPS6_Pl,"axG",@progbits,_ZN2at6native12_GLOBAL__N_121max_pool_forward_nchwIN3c108BFloat16EiEEvT0_PKT_llliiiiiiiiiiPS6_Pl,comdat
	.globl	_ZN2at6native12_GLOBAL__N_121max_pool_forward_nchwIN3c108BFloat16EiEEvT0_PKT_llliiiiiiiiiiPS6_Pl ; -- Begin function _ZN2at6native12_GLOBAL__N_121max_pool_forward_nchwIN3c108BFloat16EiEEvT0_PKT_llliiiiiiiiiiPS6_Pl
	.p2align	8
	.type	_ZN2at6native12_GLOBAL__N_121max_pool_forward_nchwIN3c108BFloat16EiEEvT0_PKT_llliiiiiiiiiiPS6_Pl,@function
_ZN2at6native12_GLOBAL__N_121max_pool_forward_nchwIN3c108BFloat16EiEEvT0_PKT_llliiiiiiiiiiPS6_Pl: ; @_ZN2at6native12_GLOBAL__N_121max_pool_forward_nchwIN3c108BFloat16EiEEvT0_PKT_llliiiiiiiiiiPS6_Pl
; %bb.0:
	s_clause 0x1
	s_load_b32 s24, s[0:1], 0x0
	s_load_b32 s4, s[0:1], 0x6c
	v_mov_b32_e32 v2, 0
	s_delay_alu instid0(VALU_DEP_1)
	v_mov_b32_e32 v1, v2
	s_waitcnt lgkmcnt(0)
	s_ashr_i32 s25, s24, 31
	s_add_u32 s2, s0, 0x60
	s_addc_u32 s3, s1, 0
	s_and_b32 s28, s4, 0xffff
	s_mov_b32 s4, exec_lo
	v_mad_u64_u32 v[4:5], null, s28, s15, v[0:1]
	s_delay_alu instid0(VALU_DEP_1)
	v_cmpx_gt_i64_e64 s[24:25], v[4:5]
	s_cbranch_execz .LBB14_15
; %bb.1:
	s_load_b256 s[4:11], s[0:1], 0x28
	s_load_b32 s2, s[2:3], 0x0
	s_clause 0x2
	s_load_b64 s[26:27], s[0:1], 0x48
	s_load_b256 s[12:19], s[0:1], 0x8
	s_load_b128 s[20:23], s[0:1], 0x50
	s_mov_b32 s33, 0
	s_waitcnt lgkmcnt(0)
	s_abs_i32 s42, s5
	s_abs_i32 s44, s4
	v_cvt_f32_u32_e32 v0, s42
	v_cvt_f32_u32_e32 v1, s44
	s_max_u32 s39, s26, 1
	s_max_u32 s40, s27, 1
	v_cvt_f32_u32_e32 v3, s39
	v_rcp_iflag_f32_e32 v0, v0
	v_rcp_iflag_f32_e32 v1, v1
	v_cvt_f32_u32_e32 v6, s40
	s_add_i32 s1, s6, -1
	v_rcp_iflag_f32_e32 v3, v3
	v_cvt_f32_u32_e32 v7, s14
	s_mul_i32 s38, s2, s28
	v_rcp_iflag_f32_e32 v6, v6
	s_mul_i32 s2, s18, s17
	s_mul_i32 s17, s1, s26
	s_delay_alu instid0(TRANS32_DEP_3) | instskip(SKIP_2) | instid1(TRANS32_DEP_3)
	v_dual_mul_f32 v0, 0x4f7ffffe, v0 :: v_dual_mul_f32 v1, 0x4f7ffffe, v1
	s_sub_i32 s1, 0, s42
	v_rcp_iflag_f32_e32 v7, v7
	v_mul_f32_e32 v3, 0x4f7ffffe, v3
	s_delay_alu instid0(VALU_DEP_2)
	v_cvt_u32_f32_e32 v0, v0
	s_sub_i32 s30, 0, s39
	s_waitcnt_depctr 0xfff
	v_mul_f32_e32 v6, 0x4f7ffffe, v6
	v_cvt_u32_f32_e32 v1, v1
	v_cvt_u32_f32_e32 v3, v3
	v_mul_lo_u32 v8, s1, v0
	s_sub_i32 s28, 0, s14
	v_cvt_u32_f32_e32 v6, v6
	s_sub_i32 s29, 0, s44
	v_mul_lo_u32 v10, s30, v3
	s_sub_i32 s31, 0, s40
	v_mul_lo_u32 v9, s29, v1
	v_mul_lo_u32 v11, s31, v6
	v_mul_hi_u32 v8, v0, v8
	v_mul_f32_e32 v7, 0x4f7ffffe, v7
	s_mul_hi_u32 s6, s18, s16
	s_add_i32 s3, s7, -1
	v_mul_hi_u32 v12, v3, v10
	s_mul_i32 s7, s19, s16
	s_add_i32 s1, s6, s2
	v_mul_hi_u32 v9, v1, v9
	v_add_nc_u32_e32 v10, v0, v8
	v_cvt_u32_f32_e32 v7, v7
	v_mul_hi_u32 v13, v6, v11
	s_mul_i32 s0, s18, s16
	s_add_i32 s1, s1, s7
	v_add_nc_u32_e32 v12, v3, v12
	v_mul_lo_u32 v14, s28, v7
	s_lshl_b64 s[6:7], s[0:1], 1
	s_ashr_i32 s0, s26, 31
	s_mul_hi_u32 s1, s18, s26
	s_mul_i32 s0, s18, s0
	v_add_nc_u32_e32 v11, v1, v9
	s_add_i32 s0, s1, s0
	s_mul_i32 s1, s19, s26
	v_mul_hi_u32 v0, v7, v14
	v_add_nc_u32_e32 v13, v6, v13
	s_mul_i32 s45, s3, s27
	s_add_i32 s29, s0, s1
	s_mul_i32 s28, s26, s18
	s_ashr_i32 s1, s27, 31
	s_mov_b32 s0, s27
	s_ashr_i32 s41, s5, 31
	v_add_nc_u32_e32 v14, v7, v0
	s_ashr_i32 s43, s4, 31
	s_add_i32 s17, s17, 1
	s_add_i32 s45, s45, 1
	s_sub_i32 s46, 0, s10
	s_sub_i32 s47, 0, s11
	s_lshl_b64 s[30:31], s[28:29], 1
	s_lshl_b64 s[34:35], s[0:1], 1
	s_ashr_i32 s36, s15, 31
	s_branch .LBB14_4
.LBB14_2:                               ;   in Loop: Header=BB14_4 Depth=1
	s_set_inst_prefetch_distance 0x2
	s_or_b32 exec_lo, exec_lo, s29
.LBB14_3:                               ;   in Loop: Header=BB14_4 Depth=1
	s_delay_alu instid0(SALU_CYCLE_1) | instskip(SKIP_4) | instid1(VALU_DEP_3)
	s_or_b32 exec_lo, exec_lo, s3
	v_ashrrev_i32_e32 v7, 31, v4
	v_mov_b32_e32 v6, v4
	v_add_co_u32 v4, vcc_lo, v4, s38
	v_add_co_ci_u32_e32 v5, vcc_lo, 0, v5, vcc_lo
	v_lshlrev_b64 v[8:9], 1, v[6:7]
	v_lshlrev_b64 v[6:7], 3, v[6:7]
	v_ashrrev_i32_e32 v1, 31, v0
	s_delay_alu instid0(VALU_DEP_3) | instskip(NEXT) | instid1(VALU_DEP_4)
	v_add_co_u32 v8, vcc_lo, s20, v8
	v_add_co_ci_u32_e32 v9, vcc_lo, s21, v9, vcc_lo
	v_cmp_le_i64_e32 vcc_lo, s[24:25], v[4:5]
	v_add_co_u32 v6, s0, s22, v6
	s_delay_alu instid0(VALU_DEP_1) | instskip(SKIP_3) | instid1(SALU_CYCLE_1)
	v_add_co_ci_u32_e64 v7, s0, s23, v7, s0
	global_store_b16 v[8:9], v17, off
	global_store_b64 v[6:7], v[0:1], off
	s_or_b32 s33, vcc_lo, s33
	s_and_not1_b32 exec_lo, exec_lo, s33
	s_cbranch_execz .LBB14_15
.LBB14_4:                               ; =>This Loop Header: Depth=1
                                        ;     Child Loop BB14_11 Depth 2
                                        ;       Child Loop BB14_13 Depth 3
	v_sub_nc_u32_e32 v0, 0, v4
	s_mov_b32 s0, exec_lo
	s_delay_alu instid0(VALU_DEP_1) | instskip(NEXT) | instid1(VALU_DEP_1)
	v_max_i32_e32 v0, v4, v0
	v_mul_hi_u32 v1, v0, v10
	s_delay_alu instid0(VALU_DEP_1) | instskip(NEXT) | instid1(VALU_DEP_1)
	v_mul_lo_u32 v3, v1, s42
	v_sub_nc_u32_e32 v0, v0, v3
	s_delay_alu instid0(VALU_DEP_1) | instskip(SKIP_1) | instid1(VALU_DEP_2)
	v_subrev_nc_u32_e32 v6, s42, v0
	v_cmp_le_u32_e32 vcc_lo, s42, v0
	v_dual_cndmask_b32 v0, v0, v6 :: v_dual_add_nc_u32 v3, 1, v1
	s_delay_alu instid0(VALU_DEP_1) | instskip(SKIP_1) | instid1(VALU_DEP_3)
	v_cndmask_b32_e32 v1, v1, v3, vcc_lo
	v_ashrrev_i32_e32 v3, 31, v4
	v_cmp_le_u32_e32 vcc_lo, s42, v0
	s_delay_alu instid0(VALU_DEP_3) | instskip(NEXT) | instid1(VALU_DEP_3)
	v_add_nc_u32_e32 v6, 1, v1
	v_xor_b32_e32 v3, s41, v3
	s_delay_alu instid0(VALU_DEP_2) | instskip(NEXT) | instid1(VALU_DEP_1)
	v_cndmask_b32_e32 v0, v1, v6, vcc_lo
	v_xor_b32_e32 v0, v0, v3
	s_delay_alu instid0(VALU_DEP_1) | instskip(NEXT) | instid1(VALU_DEP_1)
	v_sub_nc_u32_e32 v0, v0, v3
	v_sub_nc_u32_e32 v1, 0, v0
	s_delay_alu instid0(VALU_DEP_1) | instskip(NEXT) | instid1(VALU_DEP_1)
	v_max_i32_e32 v1, v0, v1
	v_mul_hi_u32 v3, v1, v11
	s_delay_alu instid0(VALU_DEP_1) | instskip(NEXT) | instid1(VALU_DEP_1)
	v_mul_lo_u32 v6, v3, s44
	v_sub_nc_u32_e32 v1, v1, v6
	v_add_nc_u32_e32 v6, 1, v3
	s_delay_alu instid0(VALU_DEP_2) | instskip(SKIP_1) | instid1(VALU_DEP_3)
	v_subrev_nc_u32_e32 v7, s44, v1
	v_cmp_le_u32_e32 vcc_lo, s44, v1
	v_cndmask_b32_e32 v3, v3, v6, vcc_lo
	s_delay_alu instid0(VALU_DEP_3) | instskip(SKIP_1) | instid1(VALU_DEP_3)
	v_cndmask_b32_e32 v1, v1, v7, vcc_lo
	v_ashrrev_i32_e32 v6, 31, v0
	v_add_nc_u32_e32 v7, 1, v3
	s_delay_alu instid0(VALU_DEP_3) | instskip(NEXT) | instid1(VALU_DEP_3)
	v_cmp_le_u32_e32 vcc_lo, s44, v1
	v_xor_b32_e32 v6, s43, v6
	s_delay_alu instid0(VALU_DEP_3) | instskip(NEXT) | instid1(VALU_DEP_1)
	v_cndmask_b32_e32 v1, v3, v7, vcc_lo
	v_xor_b32_e32 v1, v1, v6
	s_delay_alu instid0(VALU_DEP_1) | instskip(NEXT) | instid1(VALU_DEP_1)
	v_sub_nc_u32_e32 v8, v1, v6
                                        ; implicit-def: $vgpr6_vgpr7
	v_ashrrev_i32_e32 v9, 31, v8
	s_delay_alu instid0(VALU_DEP_1) | instskip(NEXT) | instid1(VALU_DEP_1)
	v_or_b32_e32 v3, s15, v9
	v_cmpx_ne_u64_e32 0, v[2:3]
	s_xor_b32 s1, exec_lo, s0
	s_cbranch_execz .LBB14_6
; %bb.5:                                ;   in Loop: Header=BB14_4 Depth=1
	s_add_u32 s2, s14, s36
	s_mov_b32 s37, s36
	s_addc_u32 s3, s15, s36
	v_mov_b32_e32 v20, v9
	s_xor_b64 s[2:3], s[2:3], s[36:37]
	s_delay_alu instid0(SALU_CYCLE_1) | instskip(SKIP_3) | instid1(VALU_DEP_1)
	v_cvt_f32_u32_e32 v1, s2
	v_cvt_f32_u32_e32 v3, s3
	s_sub_u32 s0, 0, s2
	s_subb_u32 s29, 0, s3
	v_fmac_f32_e32 v1, 0x4f800000, v3
	s_delay_alu instid0(VALU_DEP_1) | instskip(SKIP_2) | instid1(VALU_DEP_1)
	v_rcp_f32_e32 v1, v1
	s_waitcnt_depctr 0xfff
	v_mul_f32_e32 v1, 0x5f7ffffc, v1
	v_mul_f32_e32 v3, 0x2f800000, v1
	s_delay_alu instid0(VALU_DEP_1) | instskip(NEXT) | instid1(VALU_DEP_1)
	v_trunc_f32_e32 v3, v3
	v_fmac_f32_e32 v1, 0xcf800000, v3
	v_cvt_u32_f32_e32 v3, v3
	s_delay_alu instid0(VALU_DEP_2) | instskip(NEXT) | instid1(VALU_DEP_2)
	v_cvt_u32_f32_e32 v1, v1
	v_mul_lo_u32 v6, s0, v3
	s_delay_alu instid0(VALU_DEP_2) | instskip(SKIP_1) | instid1(VALU_DEP_2)
	v_mul_hi_u32 v7, s0, v1
	v_mul_lo_u32 v15, s29, v1
	v_add_nc_u32_e32 v6, v7, v6
	v_mul_lo_u32 v7, s0, v1
	s_delay_alu instid0(VALU_DEP_2) | instskip(NEXT) | instid1(VALU_DEP_2)
	v_add_nc_u32_e32 v6, v6, v15
	v_mul_hi_u32 v15, v1, v7
	s_delay_alu instid0(VALU_DEP_2)
	v_mul_lo_u32 v16, v1, v6
	v_mul_hi_u32 v17, v1, v6
	v_mul_hi_u32 v18, v3, v7
	v_mul_lo_u32 v7, v3, v7
	v_mul_hi_u32 v19, v3, v6
	v_mul_lo_u32 v6, v3, v6
	v_add_co_u32 v15, vcc_lo, v15, v16
	v_add_co_ci_u32_e32 v16, vcc_lo, 0, v17, vcc_lo
	s_delay_alu instid0(VALU_DEP_2) | instskip(NEXT) | instid1(VALU_DEP_2)
	v_add_co_u32 v7, vcc_lo, v15, v7
	v_add_co_ci_u32_e32 v7, vcc_lo, v16, v18, vcc_lo
	v_add_co_ci_u32_e32 v15, vcc_lo, 0, v19, vcc_lo
	v_mov_b32_e32 v19, v9
	s_delay_alu instid0(VALU_DEP_3) | instskip(NEXT) | instid1(VALU_DEP_3)
	v_add_co_u32 v6, vcc_lo, v7, v6
	v_add_co_ci_u32_e32 v7, vcc_lo, 0, v15, vcc_lo
	s_delay_alu instid0(VALU_DEP_2) | instskip(NEXT) | instid1(VALU_DEP_2)
	v_add_co_u32 v1, vcc_lo, v1, v6
	v_add_co_ci_u32_e32 v3, vcc_lo, v3, v7, vcc_lo
	s_delay_alu instid0(VALU_DEP_2) | instskip(SKIP_1) | instid1(VALU_DEP_3)
	v_mul_hi_u32 v6, s0, v1
	v_mul_lo_u32 v15, s29, v1
	v_mul_lo_u32 v7, s0, v3
	s_delay_alu instid0(VALU_DEP_1) | instskip(SKIP_1) | instid1(VALU_DEP_2)
	v_add_nc_u32_e32 v6, v6, v7
	v_mul_lo_u32 v7, s0, v1
	v_add_nc_u32_e32 v6, v6, v15
	s_delay_alu instid0(VALU_DEP_2) | instskip(NEXT) | instid1(VALU_DEP_2)
	v_mul_hi_u32 v15, v1, v7
	v_mul_lo_u32 v16, v1, v6
	v_mul_hi_u32 v17, v1, v6
	v_mul_hi_u32 v18, v3, v7
	v_mul_lo_u32 v7, v3, v7
	v_mul_hi_u32 v21, v3, v6
	v_mul_lo_u32 v6, v3, v6
	v_add_co_u32 v15, vcc_lo, v15, v16
	v_add_co_ci_u32_e32 v16, vcc_lo, 0, v17, vcc_lo
	s_delay_alu instid0(VALU_DEP_2) | instskip(NEXT) | instid1(VALU_DEP_2)
	v_add_co_u32 v7, vcc_lo, v15, v7
	v_add_co_ci_u32_e32 v7, vcc_lo, v16, v18, vcc_lo
	v_add_co_ci_u32_e32 v15, vcc_lo, 0, v21, vcc_lo
	v_add_co_u32 v16, vcc_lo, v8, v19
	v_add_co_ci_u32_e32 v17, vcc_lo, v9, v20, vcc_lo
	s_delay_alu instid0(VALU_DEP_4) | instskip(NEXT) | instid1(VALU_DEP_4)
	v_add_co_u32 v6, vcc_lo, v7, v6
	v_add_co_ci_u32_e32 v7, vcc_lo, 0, v15, vcc_lo
	s_delay_alu instid0(VALU_DEP_4) | instskip(NEXT) | instid1(VALU_DEP_3)
	v_xor_b32_e32 v21, v16, v19
	v_add_co_u32 v1, vcc_lo, v1, v6
	s_delay_alu instid0(VALU_DEP_3) | instskip(SKIP_1) | instid1(VALU_DEP_3)
	v_add_co_ci_u32_e32 v3, vcc_lo, v3, v7, vcc_lo
	v_xor_b32_e32 v22, v17, v20
	v_mul_hi_u32 v23, v21, v1
	s_delay_alu instid0(VALU_DEP_3) | instskip(NEXT) | instid1(VALU_DEP_3)
	v_mad_u64_u32 v[6:7], null, v21, v3, 0
	v_mad_u64_u32 v[15:16], null, v22, v1, 0
	;; [unrolled: 1-line block ×3, first 2 shown]
	s_delay_alu instid0(VALU_DEP_3) | instskip(NEXT) | instid1(VALU_DEP_4)
	v_add_co_u32 v1, vcc_lo, v23, v6
	v_add_co_ci_u32_e32 v3, vcc_lo, 0, v7, vcc_lo
	s_delay_alu instid0(VALU_DEP_2) | instskip(NEXT) | instid1(VALU_DEP_2)
	v_add_co_u32 v1, vcc_lo, v1, v15
	v_add_co_ci_u32_e32 v1, vcc_lo, v3, v16, vcc_lo
	v_add_co_ci_u32_e32 v3, vcc_lo, 0, v18, vcc_lo
	s_delay_alu instid0(VALU_DEP_2) | instskip(NEXT) | instid1(VALU_DEP_2)
	v_add_co_u32 v1, vcc_lo, v1, v17
	v_add_co_ci_u32_e32 v3, vcc_lo, 0, v3, vcc_lo
	s_delay_alu instid0(VALU_DEP_2) | instskip(SKIP_1) | instid1(VALU_DEP_3)
	v_mul_lo_u32 v15, s3, v1
	v_mad_u64_u32 v[6:7], null, s2, v1, 0
	v_mul_lo_u32 v16, s2, v3
	s_delay_alu instid0(VALU_DEP_2) | instskip(NEXT) | instid1(VALU_DEP_2)
	v_sub_co_u32 v6, vcc_lo, v21, v6
	v_add3_u32 v7, v7, v16, v15
	s_delay_alu instid0(VALU_DEP_1) | instskip(NEXT) | instid1(VALU_DEP_1)
	v_sub_nc_u32_e32 v15, v22, v7
	v_subrev_co_ci_u32_e64 v15, s0, s3, v15, vcc_lo
	v_add_co_u32 v16, s0, v1, 2
	s_delay_alu instid0(VALU_DEP_1) | instskip(SKIP_3) | instid1(VALU_DEP_3)
	v_add_co_ci_u32_e64 v17, s0, 0, v3, s0
	v_sub_co_u32 v18, s0, v6, s2
	v_sub_co_ci_u32_e32 v7, vcc_lo, v22, v7, vcc_lo
	v_subrev_co_ci_u32_e64 v15, s0, 0, v15, s0
	v_cmp_le_u32_e32 vcc_lo, s2, v18
	s_delay_alu instid0(VALU_DEP_3) | instskip(SKIP_1) | instid1(VALU_DEP_4)
	v_cmp_eq_u32_e64 s0, s3, v7
	v_cndmask_b32_e64 v18, 0, -1, vcc_lo
	v_cmp_le_u32_e32 vcc_lo, s3, v15
	v_cndmask_b32_e64 v21, 0, -1, vcc_lo
	v_cmp_le_u32_e32 vcc_lo, s2, v6
	;; [unrolled: 2-line block ×3, first 2 shown]
	v_cndmask_b32_e64 v22, 0, -1, vcc_lo
	v_cmp_eq_u32_e32 vcc_lo, s3, v15
	s_delay_alu instid0(VALU_DEP_2) | instskip(SKIP_3) | instid1(VALU_DEP_3)
	v_cndmask_b32_e64 v6, v22, v6, s0
	v_cndmask_b32_e32 v15, v21, v18, vcc_lo
	v_add_co_u32 v18, vcc_lo, v1, 1
	v_add_co_ci_u32_e32 v21, vcc_lo, 0, v3, vcc_lo
	v_cmp_ne_u32_e32 vcc_lo, 0, v15
	s_delay_alu instid0(VALU_DEP_2) | instskip(NEXT) | instid1(VALU_DEP_4)
	v_cndmask_b32_e32 v7, v21, v17, vcc_lo
	v_cndmask_b32_e32 v15, v18, v16, vcc_lo
	v_cmp_ne_u32_e32 vcc_lo, 0, v6
	v_xor_b32_e32 v6, s36, v19
	s_delay_alu instid0(VALU_DEP_3) | instskip(SKIP_2) | instid1(VALU_DEP_3)
	v_cndmask_b32_e32 v1, v1, v15, vcc_lo
	v_cndmask_b32_e32 v3, v3, v7, vcc_lo
	v_xor_b32_e32 v7, s36, v20
	v_xor_b32_e32 v1, v1, v6
	s_delay_alu instid0(VALU_DEP_2) | instskip(NEXT) | instid1(VALU_DEP_2)
	v_xor_b32_e32 v3, v3, v7
	v_sub_co_u32 v6, vcc_lo, v1, v6
	s_delay_alu instid0(VALU_DEP_2)
	v_sub_co_ci_u32_e32 v7, vcc_lo, v3, v7, vcc_lo
.LBB14_6:                               ;   in Loop: Header=BB14_4 Depth=1
	s_and_not1_saveexec_b32 s0, s1
; %bb.7:                                ;   in Loop: Header=BB14_4 Depth=1
	v_mul_hi_u32 v1, v8, v14
	s_delay_alu instid0(VALU_DEP_1) | instskip(NEXT) | instid1(VALU_DEP_1)
	v_mul_lo_u32 v3, v1, s14
	v_sub_nc_u32_e32 v3, v8, v3
	s_delay_alu instid0(VALU_DEP_1) | instskip(SKIP_1) | instid1(VALU_DEP_2)
	v_subrev_nc_u32_e32 v7, s14, v3
	v_cmp_le_u32_e32 vcc_lo, s14, v3
	v_dual_cndmask_b32 v3, v3, v7 :: v_dual_add_nc_u32 v6, 1, v1
	s_delay_alu instid0(VALU_DEP_1) | instskip(SKIP_1) | instid1(VALU_DEP_3)
	v_cndmask_b32_e32 v1, v1, v6, vcc_lo
	v_mov_b32_e32 v7, v2
	v_cmp_le_u32_e32 vcc_lo, s14, v3
	s_delay_alu instid0(VALU_DEP_3) | instskip(NEXT) | instid1(VALU_DEP_1)
	v_add_nc_u32_e32 v6, 1, v1
	v_cndmask_b32_e32 v6, v1, v6, vcc_lo
; %bb.8:                                ;   in Loop: Header=BB14_4 Depth=1
	s_or_b32 exec_lo, exec_lo, s0
	v_mul_lo_u32 v1, v8, s4
	v_mul_lo_u32 v3, v0, s5
	s_mov_b32 s3, exec_lo
	s_delay_alu instid0(VALU_DEP_2) | instskip(NEXT) | instid1(VALU_DEP_2)
	v_sub_nc_u32_e32 v0, v0, v1
	v_sub_nc_u32_e32 v1, v4, v3
	s_delay_alu instid0(VALU_DEP_2) | instskip(NEXT) | instid1(VALU_DEP_2)
	v_mul_lo_u32 v20, v0, s8
	v_mul_lo_u32 v19, v1, s9
	s_delay_alu instid0(VALU_DEP_2) | instskip(NEXT) | instid1(VALU_DEP_2)
	v_subrev_nc_u32_e32 v0, s10, v20
	v_subrev_nc_u32_e32 v18, s11, v19
	s_delay_alu instid0(VALU_DEP_2) | instskip(NEXT) | instid1(VALU_DEP_2)
	v_max_i32_e32 v1, 0, v0
	v_max_i32_e32 v3, 0, v18
	s_delay_alu instid0(VALU_DEP_2) | instskip(NEXT) | instid1(VALU_DEP_2)
	v_add_nc_u32_e32 v1, s10, v1
	v_add_nc_u32_e32 v3, s11, v3
	s_delay_alu instid0(VALU_DEP_2) | instskip(NEXT) | instid1(VALU_DEP_2)
	v_cmp_ne_u32_e32 vcc_lo, v1, v20
	v_cmp_ne_u32_e64 s0, v3, v19
	v_cndmask_b32_e64 v15, 0, 1, vcc_lo
	s_delay_alu instid0(VALU_DEP_2) | instskip(NEXT) | instid1(VALU_DEP_2)
	v_cndmask_b32_e64 v16, 0, 1, s0
	v_add_nc_u32_e32 v15, v20, v15
	s_delay_alu instid0(VALU_DEP_2) | instskip(NEXT) | instid1(VALU_DEP_2)
	v_add_nc_u32_e32 v16, v19, v16
	v_sub_nc_u32_e32 v1, v1, v15
	s_delay_alu instid0(VALU_DEP_1) | instskip(NEXT) | instid1(VALU_DEP_1)
	v_mul_hi_u32 v15, v1, v12
	v_mul_lo_u32 v17, v15, s39
	s_delay_alu instid0(VALU_DEP_1) | instskip(SKIP_1) | instid1(VALU_DEP_2)
	v_sub_nc_u32_e32 v1, v1, v17
	v_add_nc_u32_e32 v17, 1, v15
	v_cmp_le_u32_e64 s1, s39, v1
	s_delay_alu instid0(VALU_DEP_1) | instskip(SKIP_1) | instid1(VALU_DEP_1)
	v_cndmask_b32_e64 v15, v15, v17, s1
	v_subrev_nc_u32_e32 v17, s39, v1
	v_cndmask_b32_e64 v1, v1, v17, s1
	s_delay_alu instid0(VALU_DEP_3) | instskip(NEXT) | instid1(VALU_DEP_2)
	v_add_nc_u32_e32 v17, 1, v15
	v_cmp_le_u32_e64 s1, s39, v1
	s_delay_alu instid0(VALU_DEP_1) | instskip(SKIP_2) | instid1(VALU_DEP_3)
	v_cndmask_b32_e64 v1, v15, v17, s1
	v_mov_b32_e32 v17, 0xffffff80
	v_sub_nc_u32_e32 v3, v3, v16
	v_add_co_ci_u32_e32 v1, vcc_lo, 0, v1, vcc_lo
	s_delay_alu instid0(VALU_DEP_2) | instskip(NEXT) | instid1(VALU_DEP_1)
	v_mul_hi_u32 v16, v3, v13
	v_mul_lo_u32 v21, v16, s40
	s_delay_alu instid0(VALU_DEP_1) | instskip(SKIP_1) | instid1(VALU_DEP_2)
	v_sub_nc_u32_e32 v3, v3, v21
	v_add_nc_u32_e32 v21, 1, v16
	v_subrev_nc_u32_e32 v22, s40, v3
	v_cmp_le_u32_e64 s2, s40, v3
	s_delay_alu instid0(VALU_DEP_1) | instskip(NEXT) | instid1(VALU_DEP_3)
	v_cndmask_b32_e64 v16, v16, v21, s2
	v_cndmask_b32_e64 v3, v3, v22, s2
	v_mul_lo_u32 v22, v1, s26
	v_add_nc_u32_e32 v1, s17, v0
	s_delay_alu instid0(VALU_DEP_4) | instskip(NEXT) | instid1(VALU_DEP_4)
	v_add_nc_u32_e32 v21, 1, v16
	v_cmp_le_u32_e64 s1, s40, v3
	s_delay_alu instid0(VALU_DEP_4) | instskip(NEXT) | instid1(VALU_DEP_2)
	v_add_nc_u32_e32 v15, v0, v22
	v_cndmask_b32_e64 v3, v16, v21, s1
	v_min_i32_e32 v16, s16, v1
	s_delay_alu instid0(VALU_DEP_2) | instskip(NEXT) | instid1(VALU_DEP_1)
	v_add_co_ci_u32_e64 v3, vcc_lo, 0, v3, s0
	v_mul_lo_u32 v21, v3, s27
	s_delay_alu instid0(VALU_DEP_1) | instskip(NEXT) | instid1(VALU_DEP_1)
	v_add_nc_u32_e32 v3, v18, v21
	v_mad_u64_u32 v[0:1], null, v15, s18, v[3:4]
	v_cmpx_lt_i32_e64 v15, v16
	s_cbranch_execz .LBB14_3
; %bb.9:                                ;   in Loop: Header=BB14_4 Depth=1
	v_mul_lo_u32 v1, v7, s14
	v_mul_lo_u32 v17, v6, s15
	v_add3_u32 v25, s46, v20, v22
	v_mad_u64_u32 v[22:23], null, v6, s14, 0
	v_add3_u32 v19, s47, v19, v21
	s_mov_b32 s29, 0
	s_delay_alu instid0(VALU_DEP_3) | instskip(SKIP_1) | instid1(VALU_DEP_3)
	v_ashrrev_i32_e32 v7, 31, v25
	v_mul_lo_u32 v26, s19, v25
	v_ashrrev_i32_e32 v20, 31, v19
	v_add3_u32 v1, v23, v17, v1
	s_delay_alu instid0(VALU_DEP_4) | instskip(SKIP_1) | instid1(VALU_DEP_4)
	v_mul_lo_u32 v21, s18, v7
	v_sub_co_u32 v7, vcc_lo, v8, v22
	v_mad_u64_u32 v[23:24], null, s18, v25, v[19:20]
	s_delay_alu instid0(VALU_DEP_4) | instskip(SKIP_1) | instid1(VALU_DEP_2)
	v_sub_co_ci_u32_e32 v8, vcc_lo, v9, v1, vcc_lo
	v_ashrrev_i32_e32 v1, 31, v6
	v_mad_u64_u32 v[19:20], null, v6, s14, v[7:8]
	s_delay_alu instid0(VALU_DEP_2) | instskip(SKIP_1) | instid1(VALU_DEP_1)
	v_mul_lo_u32 v1, v1, s14
	v_add3_u32 v24, v26, v24, v21
	v_lshlrev_b64 v[6:7], 1, v[23:24]
	s_delay_alu instid0(VALU_DEP_3)
	v_add3_u32 v1, v1, v20, v17
	v_mul_lo_u32 v20, s7, v19
	v_add_nc_u32_e32 v17, s45, v18
	v_mul_lo_u32 v18, s18, v25
	v_mad_u64_u32 v[8:9], null, s6, v19, v[6:7]
	v_mul_lo_u32 v6, s6, v1
	s_delay_alu instid0(VALU_DEP_4) | instskip(SKIP_1) | instid1(VALU_DEP_2)
	v_min_i32_e32 v1, s18, v17
	v_mov_b32_e32 v17, 0xffffff80
	v_cmp_lt_i32_e32 vcc_lo, v3, v1
	s_delay_alu instid0(VALU_DEP_4) | instskip(SKIP_1) | instid1(VALU_DEP_1)
	v_add3_u32 v7, v20, v9, v6
	v_add_co_u32 v6, s0, s12, v8
	v_add_co_ci_u32_e64 v7, s0, s13, v7, s0
	s_set_inst_prefetch_distance 0x1
	s_branch .LBB14_11
	.p2align	6
.LBB14_10:                              ;   in Loop: Header=BB14_11 Depth=2
	s_or_b32 exec_lo, exec_lo, s37
	v_add_nc_u32_e32 v15, s26, v15
	v_add_co_u32 v6, s1, v6, s30
	s_delay_alu instid0(VALU_DEP_1) | instskip(NEXT) | instid1(VALU_DEP_3)
	v_add_co_ci_u32_e64 v7, s1, s31, v7, s1
	v_cmp_ge_i32_e64 s0, v15, v16
	v_add_nc_u32_e32 v18, s28, v18
	s_delay_alu instid0(VALU_DEP_2) | instskip(NEXT) | instid1(SALU_CYCLE_1)
	s_or_b32 s29, s0, s29
	s_and_not1_b32 exec_lo, exec_lo, s29
	s_cbranch_execz .LBB14_2
.LBB14_11:                              ;   Parent Loop BB14_4 Depth=1
                                        ; =>  This Loop Header: Depth=2
                                        ;       Child Loop BB14_13 Depth 3
	s_and_saveexec_b32 s37, vcc_lo
	s_cbranch_execz .LBB14_10
; %bb.12:                               ;   in Loop: Header=BB14_11 Depth=2
	v_dual_mov_b32 v9, v7 :: v_dual_mov_b32 v8, v6
	v_mov_b32_e32 v19, v3
	s_mov_b32 s48, 0
	.p2align	6
.LBB14_13:                              ;   Parent Loop BB14_4 Depth=1
                                        ;     Parent Loop BB14_11 Depth=2
                                        ; =>    This Inner Loop Header: Depth=3
	global_load_u16 v20, v[8:9], off
	v_lshlrev_b32_e32 v21, 16, v17
	v_add_nc_u32_e32 v23, v18, v19
	v_add_nc_u32_e32 v19, s27, v19
	v_add_co_u32 v8, s2, v8, s34
	s_delay_alu instid0(VALU_DEP_1) | instskip(NEXT) | instid1(VALU_DEP_3)
	v_add_co_ci_u32_e64 v9, s2, s35, v9, s2
	v_cmp_ge_i32_e64 s2, v19, v1
	s_waitcnt vmcnt(0)
	v_lshlrev_b32_e32 v22, 16, v20
	s_delay_alu instid0(VALU_DEP_1) | instskip(SKIP_1) | instid1(VALU_DEP_1)
	v_cmp_gt_f32_e64 s0, v22, v21
	v_cmp_u_f32_e64 s1, v22, v22
	s_or_b32 s0, s0, s1
	s_or_b32 s48, s2, s48
	v_cndmask_b32_e64 v17, v17, v20, s0
	v_cndmask_b32_e64 v0, v0, v23, s0
	s_and_not1_b32 exec_lo, exec_lo, s48
	s_cbranch_execnz .LBB14_13
; %bb.14:                               ;   in Loop: Header=BB14_11 Depth=2
	s_or_b32 exec_lo, exec_lo, s48
	s_branch .LBB14_10
.LBB14_15:
	s_nop 0
	s_sendmsg sendmsg(MSG_DEALLOC_VGPRS)
	s_endpgm
	.section	.rodata,"a",@progbits
	.p2align	6, 0x0
	.amdhsa_kernel _ZN2at6native12_GLOBAL__N_121max_pool_forward_nchwIN3c108BFloat16EiEEvT0_PKT_llliiiiiiiiiiPS6_Pl
		.amdhsa_group_segment_fixed_size 0
		.amdhsa_private_segment_fixed_size 0
		.amdhsa_kernarg_size 352
		.amdhsa_user_sgpr_count 15
		.amdhsa_user_sgpr_dispatch_ptr 0
		.amdhsa_user_sgpr_queue_ptr 0
		.amdhsa_user_sgpr_kernarg_segment_ptr 1
		.amdhsa_user_sgpr_dispatch_id 0
		.amdhsa_user_sgpr_private_segment_size 0
		.amdhsa_wavefront_size32 1
		.amdhsa_uses_dynamic_stack 0
		.amdhsa_enable_private_segment 0
		.amdhsa_system_sgpr_workgroup_id_x 1
		.amdhsa_system_sgpr_workgroup_id_y 0
		.amdhsa_system_sgpr_workgroup_id_z 0
		.amdhsa_system_sgpr_workgroup_info 0
		.amdhsa_system_vgpr_workitem_id 0
		.amdhsa_next_free_vgpr 27
		.amdhsa_next_free_sgpr 49
		.amdhsa_reserve_vcc 1
		.amdhsa_float_round_mode_32 0
		.amdhsa_float_round_mode_16_64 0
		.amdhsa_float_denorm_mode_32 3
		.amdhsa_float_denorm_mode_16_64 3
		.amdhsa_dx10_clamp 1
		.amdhsa_ieee_mode 1
		.amdhsa_fp16_overflow 0
		.amdhsa_workgroup_processor_mode 1
		.amdhsa_memory_ordered 1
		.amdhsa_forward_progress 0
		.amdhsa_shared_vgpr_count 0
		.amdhsa_exception_fp_ieee_invalid_op 0
		.amdhsa_exception_fp_denorm_src 0
		.amdhsa_exception_fp_ieee_div_zero 0
		.amdhsa_exception_fp_ieee_overflow 0
		.amdhsa_exception_fp_ieee_underflow 0
		.amdhsa_exception_fp_ieee_inexact 0
		.amdhsa_exception_int_div_zero 0
	.end_amdhsa_kernel
	.section	.text._ZN2at6native12_GLOBAL__N_121max_pool_forward_nchwIN3c108BFloat16EiEEvT0_PKT_llliiiiiiiiiiPS6_Pl,"axG",@progbits,_ZN2at6native12_GLOBAL__N_121max_pool_forward_nchwIN3c108BFloat16EiEEvT0_PKT_llliiiiiiiiiiPS6_Pl,comdat
.Lfunc_end14:
	.size	_ZN2at6native12_GLOBAL__N_121max_pool_forward_nchwIN3c108BFloat16EiEEvT0_PKT_llliiiiiiiiiiPS6_Pl, .Lfunc_end14-_ZN2at6native12_GLOBAL__N_121max_pool_forward_nchwIN3c108BFloat16EiEEvT0_PKT_llliiiiiiiiiiPS6_Pl
                                        ; -- End function
	.section	.AMDGPU.csdata,"",@progbits
; Kernel info:
; codeLenInByte = 2644
; NumSgprs: 51
; NumVgprs: 27
; ScratchSize: 0
; MemoryBound: 0
; FloatMode: 240
; IeeeMode: 1
; LDSByteSize: 0 bytes/workgroup (compile time only)
; SGPRBlocks: 6
; VGPRBlocks: 3
; NumSGPRsForWavesPerEU: 51
; NumVGPRsForWavesPerEU: 27
; Occupancy: 16
; WaveLimiterHint : 0
; COMPUTE_PGM_RSRC2:SCRATCH_EN: 0
; COMPUTE_PGM_RSRC2:USER_SGPR: 15
; COMPUTE_PGM_RSRC2:TRAP_HANDLER: 0
; COMPUTE_PGM_RSRC2:TGID_X_EN: 1
; COMPUTE_PGM_RSRC2:TGID_Y_EN: 0
; COMPUTE_PGM_RSRC2:TGID_Z_EN: 0
; COMPUTE_PGM_RSRC2:TIDIG_COMP_CNT: 0
	.section	.text._ZN2at6native12_GLOBAL__N_121max_pool_forward_nchwIN3c108BFloat16ElEEvT0_PKT_llliiiiiiiiiiPS6_Pl,"axG",@progbits,_ZN2at6native12_GLOBAL__N_121max_pool_forward_nchwIN3c108BFloat16ElEEvT0_PKT_llliiiiiiiiiiPS6_Pl,comdat
	.globl	_ZN2at6native12_GLOBAL__N_121max_pool_forward_nchwIN3c108BFloat16ElEEvT0_PKT_llliiiiiiiiiiPS6_Pl ; -- Begin function _ZN2at6native12_GLOBAL__N_121max_pool_forward_nchwIN3c108BFloat16ElEEvT0_PKT_llliiiiiiiiiiPS6_Pl
	.p2align	8
	.type	_ZN2at6native12_GLOBAL__N_121max_pool_forward_nchwIN3c108BFloat16ElEEvT0_PKT_llliiiiiiiiiiPS6_Pl,@function
_ZN2at6native12_GLOBAL__N_121max_pool_forward_nchwIN3c108BFloat16ElEEvT0_PKT_llliiiiiiiiiiPS6_Pl: ; @_ZN2at6native12_GLOBAL__N_121max_pool_forward_nchwIN3c108BFloat16ElEEvT0_PKT_llliiiiiiiiiiPS6_Pl
; %bb.0:
	s_clause 0x1
	s_load_b32 s4, s[0:1], 0x6c
	s_load_b128 s[16:19], s[0:1], 0x0
	v_mov_b32_e32 v2, 0
	s_add_u32 s2, s0, 0x60
	s_addc_u32 s3, s1, 0
	s_delay_alu instid0(VALU_DEP_1) | instskip(SKIP_3) | instid1(VALU_DEP_1)
	v_mov_b32_e32 v1, v2
	s_waitcnt lgkmcnt(0)
	s_and_b32 s26, s4, 0xffff
	s_mov_b32 s4, exec_lo
	v_mad_u64_u32 v[4:5], null, s26, s15, v[0:1]
	s_delay_alu instid0(VALU_DEP_1)
	v_cmpx_gt_i64_e64 s[16:17], v[4:5]
	s_cbranch_execz .LBB15_27
; %bb.1:
	s_clause 0x3
	s_load_b256 s[4:11], s[0:1], 0x28
	s_load_b64 s[24:25], s[0:1], 0x48
	s_load_b128 s[12:15], s[0:1], 0x18
	s_load_b128 s[20:23], s[0:1], 0x50
	s_load_b32 s0, s[2:3], 0x0
	s_mov_b32 s47, 0
	s_waitcnt lgkmcnt(0)
	v_cvt_f32_u32_e32 v0, s5
	s_add_i32 s1, s6, -1
	s_add_i32 s2, s7, -1
	s_ashr_i32 s7, s24, 31
	s_mov_b32 s6, s24
	v_rcp_iflag_f32_e32 v0, v0
	s_ashr_i32 s33, s8, 31
	s_mov_b32 s34, s8
	s_ashr_i32 s37, s9, 31
	s_mov_b32 s38, s9
	;; [unrolled: 2-line block ×3, first 2 shown]
	s_mul_i32 s41, s1, s24
	v_cmp_gt_u64_e64 s1, s[6:7], 1
	s_mul_i32 s42, s2, s25
	v_cmp_gt_u64_e64 s2, s[8:9], 1
	s_ashr_i32 s30, s5, 31
	s_ashr_i32 s31, s4, 31
	;; [unrolled: 1-line block ×4, first 2 shown]
	s_add_i32 s41, s41, 1
	s_add_i32 s42, s42, 1
	s_and_b32 s1, s1, exec_lo
	s_waitcnt_depctr 0xfff
	v_mul_f32_e32 v0, 0x4f7ffffe, v0
	s_cselect_b32 s43, s7, 0
	s_cselect_b32 s44, s24, 1
	s_and_b32 s1, s2, exec_lo
	s_mul_i32 s1, s14, s13
	s_mul_hi_u32 s2, s14, s12
	s_cselect_b32 s45, s9, 0
	s_cselect_b32 s13, s25, 1
	s_add_i32 s1, s2, s1
	s_mul_i32 s2, s15, s12
	v_cvt_u32_f32_e32 v18, v0
	s_mul_i32 s46, s0, s26
	s_add_i32 s1, s1, s2
	s_mul_i32 s0, s14, s12
	s_mov_b32 s36, s10
	s_mov_b32 s40, s11
	s_lshl_b64 s[10:11], s[0:1], 1
	s_lshl_b64 s[26:27], s[8:9], 1
	s_branch .LBB15_4
.LBB15_2:                               ;   in Loop: Header=BB15_4 Depth=1
	s_or_b32 exec_lo, exec_lo, s28
.LBB15_3:                               ;   in Loop: Header=BB15_4 Depth=1
	s_delay_alu instid0(SALU_CYCLE_1) | instskip(SKIP_4) | instid1(VALU_DEP_4)
	s_or_b32 exec_lo, exec_lo, s3
	v_lshlrev_b64 v[0:1], 1, v[4:5]
	v_lshlrev_b64 v[9:10], 3, v[4:5]
	v_add_co_u32 v4, vcc_lo, v4, s46
	v_add_co_ci_u32_e32 v5, vcc_lo, 0, v5, vcc_lo
	v_add_co_u32 v0, vcc_lo, s20, v0
	v_add_co_ci_u32_e32 v1, vcc_lo, s21, v1, vcc_lo
	s_delay_alu instid0(VALU_DEP_3) | instskip(SKIP_1) | instid1(VALU_DEP_1)
	v_cmp_le_i64_e32 vcc_lo, s[16:17], v[4:5]
	v_add_co_u32 v9, s0, s22, v9
	v_add_co_ci_u32_e64 v10, s0, s23, v10, s0
	global_store_b16 v[0:1], v3, off
	global_store_b64 v[9:10], v[7:8], off
	s_or_b32 s47, vcc_lo, s47
	s_delay_alu instid0(SALU_CYCLE_1)
	s_and_not1_b32 exec_lo, exec_lo, s47
	s_cbranch_execz .LBB15_27
.LBB15_4:                               ; =>This Loop Header: Depth=1
                                        ;     Child Loop BB15_23 Depth 2
                                        ;       Child Loop BB15_25 Depth 3
	v_or_b32_e32 v3, s30, v5
                                        ; implicit-def: $vgpr6_vgpr7
	s_mov_b32 s0, exec_lo
	s_delay_alu instid0(VALU_DEP_1)
	v_cmpx_ne_u64_e32 0, v[2:3]
	s_xor_b32 s1, exec_lo, s0
	s_cbranch_execz .LBB15_6
; %bb.5:                                ;   in Loop: Header=BB15_4 Depth=1
	s_add_u32 s28, s5, s30
	s_mov_b32 s2, s30
	s_mov_b32 s3, s30
	s_addc_u32 s29, s30, s30
	s_delay_alu instid0(SALU_CYCLE_1) | instskip(NEXT) | instid1(SALU_CYCLE_1)
	s_xor_b64 s[28:29], s[28:29], s[2:3]
	v_cvt_f32_u32_e32 v0, s28
	v_cvt_f32_u32_e32 v1, s29
	s_sub_u32 s0, 0, s28
	s_subb_u32 s48, 0, s29
	s_delay_alu instid0(VALU_DEP_1) | instskip(NEXT) | instid1(VALU_DEP_1)
	v_fmac_f32_e32 v0, 0x4f800000, v1
	v_rcp_f32_e32 v0, v0
	s_waitcnt_depctr 0xfff
	v_mul_f32_e32 v0, 0x5f7ffffc, v0
	s_delay_alu instid0(VALU_DEP_1) | instskip(NEXT) | instid1(VALU_DEP_1)
	v_mul_f32_e32 v1, 0x2f800000, v0
	v_trunc_f32_e32 v1, v1
	s_delay_alu instid0(VALU_DEP_1) | instskip(SKIP_1) | instid1(VALU_DEP_2)
	v_fmac_f32_e32 v0, 0xcf800000, v1
	v_cvt_u32_f32_e32 v1, v1
	v_cvt_u32_f32_e32 v0, v0
	s_delay_alu instid0(VALU_DEP_2) | instskip(NEXT) | instid1(VALU_DEP_2)
	v_mul_lo_u32 v3, s0, v1
	v_mul_hi_u32 v6, s0, v0
	v_mul_lo_u32 v7, s48, v0
	s_delay_alu instid0(VALU_DEP_2) | instskip(SKIP_1) | instid1(VALU_DEP_2)
	v_add_nc_u32_e32 v3, v6, v3
	v_mul_lo_u32 v6, s0, v0
	v_add_nc_u32_e32 v3, v3, v7
	s_delay_alu instid0(VALU_DEP_2) | instskip(NEXT) | instid1(VALU_DEP_2)
	v_mul_hi_u32 v7, v0, v6
	v_mul_lo_u32 v8, v0, v3
	v_mul_hi_u32 v9, v0, v3
	v_mul_hi_u32 v10, v1, v6
	v_mul_lo_u32 v6, v1, v6
	v_mul_hi_u32 v11, v1, v3
	v_mul_lo_u32 v3, v1, v3
	v_add_co_u32 v7, vcc_lo, v7, v8
	v_add_co_ci_u32_e32 v8, vcc_lo, 0, v9, vcc_lo
	s_delay_alu instid0(VALU_DEP_2) | instskip(NEXT) | instid1(VALU_DEP_2)
	v_add_co_u32 v6, vcc_lo, v7, v6
	v_add_co_ci_u32_e32 v6, vcc_lo, v8, v10, vcc_lo
	v_add_co_ci_u32_e32 v7, vcc_lo, 0, v11, vcc_lo
	v_ashrrev_i32_e32 v10, 31, v5
	s_delay_alu instid0(VALU_DEP_3) | instskip(NEXT) | instid1(VALU_DEP_3)
	v_add_co_u32 v3, vcc_lo, v6, v3
	v_add_co_ci_u32_e32 v6, vcc_lo, 0, v7, vcc_lo
	s_delay_alu instid0(VALU_DEP_2) | instskip(NEXT) | instid1(VALU_DEP_2)
	v_add_co_u32 v0, vcc_lo, v0, v3
	v_add_co_ci_u32_e32 v1, vcc_lo, v1, v6, vcc_lo
	s_delay_alu instid0(VALU_DEP_2) | instskip(SKIP_1) | instid1(VALU_DEP_3)
	v_mul_hi_u32 v3, s0, v0
	v_mul_lo_u32 v7, s48, v0
	v_mul_lo_u32 v6, s0, v1
	s_delay_alu instid0(VALU_DEP_1) | instskip(SKIP_1) | instid1(VALU_DEP_2)
	v_add_nc_u32_e32 v3, v3, v6
	v_mul_lo_u32 v6, s0, v0
	v_add_nc_u32_e32 v3, v3, v7
	s_delay_alu instid0(VALU_DEP_2) | instskip(NEXT) | instid1(VALU_DEP_2)
	v_mul_hi_u32 v7, v0, v6
	v_mul_lo_u32 v8, v0, v3
	v_mul_hi_u32 v9, v0, v3
	v_mul_hi_u32 v11, v1, v6
	v_mul_lo_u32 v6, v1, v6
	v_mul_hi_u32 v12, v1, v3
	v_mul_lo_u32 v3, v1, v3
	v_add_co_u32 v7, vcc_lo, v7, v8
	v_add_co_ci_u32_e32 v8, vcc_lo, 0, v9, vcc_lo
	s_delay_alu instid0(VALU_DEP_2) | instskip(NEXT) | instid1(VALU_DEP_2)
	v_add_co_u32 v6, vcc_lo, v7, v6
	v_add_co_ci_u32_e32 v6, vcc_lo, v8, v11, vcc_lo
	v_add_co_ci_u32_e32 v7, vcc_lo, 0, v12, vcc_lo
	v_add_co_u32 v8, vcc_lo, v4, v10
	v_add_co_ci_u32_e32 v9, vcc_lo, v5, v10, vcc_lo
	s_delay_alu instid0(VALU_DEP_4) | instskip(NEXT) | instid1(VALU_DEP_4)
	v_add_co_u32 v3, vcc_lo, v6, v3
	v_add_co_ci_u32_e32 v6, vcc_lo, 0, v7, vcc_lo
	s_delay_alu instid0(VALU_DEP_4) | instskip(NEXT) | instid1(VALU_DEP_3)
	v_xor_b32_e32 v11, v8, v10
	v_add_co_u32 v3, vcc_lo, v0, v3
	s_delay_alu instid0(VALU_DEP_3) | instskip(SKIP_1) | instid1(VALU_DEP_3)
	v_add_co_ci_u32_e32 v12, vcc_lo, v1, v6, vcc_lo
	v_xor_b32_e32 v13, v9, v10
	v_mul_hi_u32 v14, v11, v3
	s_delay_alu instid0(VALU_DEP_3) | instskip(NEXT) | instid1(VALU_DEP_3)
	v_mad_u64_u32 v[0:1], null, v11, v12, 0
	v_mad_u64_u32 v[6:7], null, v13, v3, 0
	;; [unrolled: 1-line block ×3, first 2 shown]
	s_delay_alu instid0(VALU_DEP_3) | instskip(NEXT) | instid1(VALU_DEP_4)
	v_add_co_u32 v0, vcc_lo, v14, v0
	v_add_co_ci_u32_e32 v1, vcc_lo, 0, v1, vcc_lo
	s_delay_alu instid0(VALU_DEP_2) | instskip(NEXT) | instid1(VALU_DEP_2)
	v_add_co_u32 v0, vcc_lo, v0, v6
	v_add_co_ci_u32_e32 v0, vcc_lo, v1, v7, vcc_lo
	v_add_co_ci_u32_e32 v1, vcc_lo, 0, v9, vcc_lo
	s_delay_alu instid0(VALU_DEP_2) | instskip(NEXT) | instid1(VALU_DEP_2)
	v_add_co_u32 v3, vcc_lo, v0, v8
	v_add_co_ci_u32_e32 v6, vcc_lo, 0, v1, vcc_lo
	s_delay_alu instid0(VALU_DEP_2) | instskip(SKIP_1) | instid1(VALU_DEP_3)
	v_mul_lo_u32 v7, s29, v3
	v_mad_u64_u32 v[0:1], null, s28, v3, 0
	v_mul_lo_u32 v8, s28, v6
	s_delay_alu instid0(VALU_DEP_2) | instskip(NEXT) | instid1(VALU_DEP_2)
	v_sub_co_u32 v0, vcc_lo, v11, v0
	v_add3_u32 v1, v1, v8, v7
	s_delay_alu instid0(VALU_DEP_1) | instskip(NEXT) | instid1(VALU_DEP_1)
	v_sub_nc_u32_e32 v7, v13, v1
	v_subrev_co_ci_u32_e64 v7, s0, s29, v7, vcc_lo
	v_add_co_u32 v8, s0, v3, 2
	s_delay_alu instid0(VALU_DEP_1) | instskip(SKIP_3) | instid1(VALU_DEP_3)
	v_add_co_ci_u32_e64 v9, s0, 0, v6, s0
	v_sub_co_u32 v11, s0, v0, s28
	v_sub_co_ci_u32_e32 v1, vcc_lo, v13, v1, vcc_lo
	v_subrev_co_ci_u32_e64 v7, s0, 0, v7, s0
	v_cmp_le_u32_e32 vcc_lo, s28, v11
	s_delay_alu instid0(VALU_DEP_3) | instskip(SKIP_1) | instid1(VALU_DEP_4)
	v_cmp_eq_u32_e64 s0, s29, v1
	v_cndmask_b32_e64 v11, 0, -1, vcc_lo
	v_cmp_le_u32_e32 vcc_lo, s29, v7
	v_cndmask_b32_e64 v12, 0, -1, vcc_lo
	v_cmp_le_u32_e32 vcc_lo, s28, v0
	;; [unrolled: 2-line block ×3, first 2 shown]
	v_cndmask_b32_e64 v13, 0, -1, vcc_lo
	v_cmp_eq_u32_e32 vcc_lo, s29, v7
	s_delay_alu instid0(VALU_DEP_2) | instskip(SKIP_3) | instid1(VALU_DEP_3)
	v_cndmask_b32_e64 v0, v13, v0, s0
	v_cndmask_b32_e32 v7, v12, v11, vcc_lo
	v_add_co_u32 v11, vcc_lo, v3, 1
	v_add_co_ci_u32_e32 v12, vcc_lo, 0, v6, vcc_lo
	v_cmp_ne_u32_e32 vcc_lo, 0, v7
	s_delay_alu instid0(VALU_DEP_2) | instskip(NEXT) | instid1(VALU_DEP_4)
	v_cndmask_b32_e32 v1, v12, v9, vcc_lo
	v_cndmask_b32_e32 v7, v11, v8, vcc_lo
	v_cmp_ne_u32_e32 vcc_lo, 0, v0
	v_xor_b32_e32 v0, s2, v10
	s_delay_alu instid0(VALU_DEP_3) | instskip(SKIP_2) | instid1(VALU_DEP_3)
	v_cndmask_b32_e32 v3, v3, v7, vcc_lo
	v_cndmask_b32_e32 v1, v6, v1, vcc_lo
	v_xor_b32_e32 v7, s3, v10
	v_xor_b32_e32 v3, v3, v0
	s_delay_alu instid0(VALU_DEP_2) | instskip(NEXT) | instid1(VALU_DEP_2)
	v_xor_b32_e32 v1, v1, v7
	v_sub_co_u32 v6, vcc_lo, v3, v0
	s_delay_alu instid0(VALU_DEP_2)
	v_sub_co_ci_u32_e32 v7, vcc_lo, v1, v7, vcc_lo
.LBB15_6:                               ;   in Loop: Header=BB15_4 Depth=1
	s_and_not1_saveexec_b32 s0, s1
	s_cbranch_execz .LBB15_8
; %bb.7:                                ;   in Loop: Header=BB15_4 Depth=1
	s_sub_i32 s1, 0, s5
	v_mov_b32_e32 v7, v2
	v_mul_lo_u32 v0, s1, v18
	s_delay_alu instid0(VALU_DEP_1) | instskip(NEXT) | instid1(VALU_DEP_1)
	v_mul_hi_u32 v0, v18, v0
	v_add_nc_u32_e32 v0, v18, v0
	s_delay_alu instid0(VALU_DEP_1) | instskip(NEXT) | instid1(VALU_DEP_1)
	v_mul_hi_u32 v0, v4, v0
	v_mul_lo_u32 v1, v0, s5
	v_add_nc_u32_e32 v3, 1, v0
	s_delay_alu instid0(VALU_DEP_2) | instskip(NEXT) | instid1(VALU_DEP_1)
	v_sub_nc_u32_e32 v1, v4, v1
	v_subrev_nc_u32_e32 v6, s5, v1
	v_cmp_le_u32_e32 vcc_lo, s5, v1
	s_delay_alu instid0(VALU_DEP_2) | instskip(NEXT) | instid1(VALU_DEP_1)
	v_dual_cndmask_b32 v1, v1, v6 :: v_dual_cndmask_b32 v0, v0, v3
	v_cmp_le_u32_e32 vcc_lo, s5, v1
	s_delay_alu instid0(VALU_DEP_2) | instskip(NEXT) | instid1(VALU_DEP_1)
	v_add_nc_u32_e32 v3, 1, v0
	v_cndmask_b32_e32 v6, v0, v3, vcc_lo
.LBB15_8:                               ;   in Loop: Header=BB15_4 Depth=1
	s_or_b32 exec_lo, exec_lo, s0
	s_delay_alu instid0(VALU_DEP_1) | instskip(SKIP_1) | instid1(VALU_DEP_1)
	v_or_b32_e32 v3, s31, v7
                                        ; implicit-def: $vgpr0_vgpr1
	s_mov_b32 s0, exec_lo
	v_cmpx_ne_u64_e32 0, v[2:3]
	s_xor_b32 s1, exec_lo, s0
	s_cbranch_execz .LBB15_10
; %bb.9:                                ;   in Loop: Header=BB15_4 Depth=1
	s_add_u32 s28, s4, s31
	s_mov_b32 s2, s31
	s_mov_b32 s3, s31
	s_addc_u32 s29, s31, s31
	s_delay_alu instid0(SALU_CYCLE_1) | instskip(NEXT) | instid1(SALU_CYCLE_1)
	s_xor_b64 s[28:29], s[28:29], s[2:3]
	v_cvt_f32_u32_e32 v0, s28
	v_cvt_f32_u32_e32 v1, s29
	s_sub_u32 s0, 0, s28
	s_subb_u32 s48, 0, s29
	s_delay_alu instid0(VALU_DEP_1) | instskip(NEXT) | instid1(VALU_DEP_1)
	v_fmac_f32_e32 v0, 0x4f800000, v1
	v_rcp_f32_e32 v0, v0
	s_waitcnt_depctr 0xfff
	v_mul_f32_e32 v0, 0x5f7ffffc, v0
	s_delay_alu instid0(VALU_DEP_1) | instskip(NEXT) | instid1(VALU_DEP_1)
	v_mul_f32_e32 v1, 0x2f800000, v0
	v_trunc_f32_e32 v1, v1
	s_delay_alu instid0(VALU_DEP_1) | instskip(SKIP_1) | instid1(VALU_DEP_2)
	v_fmac_f32_e32 v0, 0xcf800000, v1
	v_cvt_u32_f32_e32 v1, v1
	v_cvt_u32_f32_e32 v0, v0
	s_delay_alu instid0(VALU_DEP_2) | instskip(NEXT) | instid1(VALU_DEP_2)
	v_mul_lo_u32 v3, s0, v1
	v_mul_hi_u32 v8, s0, v0
	v_mul_lo_u32 v9, s48, v0
	s_delay_alu instid0(VALU_DEP_2) | instskip(SKIP_1) | instid1(VALU_DEP_2)
	v_add_nc_u32_e32 v3, v8, v3
	v_mul_lo_u32 v8, s0, v0
	v_add_nc_u32_e32 v3, v3, v9
	s_delay_alu instid0(VALU_DEP_2) | instskip(NEXT) | instid1(VALU_DEP_2)
	v_mul_hi_u32 v9, v0, v8
	v_mul_lo_u32 v10, v0, v3
	v_mul_hi_u32 v11, v0, v3
	v_mul_hi_u32 v12, v1, v8
	v_mul_lo_u32 v8, v1, v8
	v_mul_hi_u32 v13, v1, v3
	v_mul_lo_u32 v3, v1, v3
	v_add_co_u32 v9, vcc_lo, v9, v10
	v_add_co_ci_u32_e32 v10, vcc_lo, 0, v11, vcc_lo
	s_delay_alu instid0(VALU_DEP_2) | instskip(NEXT) | instid1(VALU_DEP_2)
	v_add_co_u32 v8, vcc_lo, v9, v8
	v_add_co_ci_u32_e32 v8, vcc_lo, v10, v12, vcc_lo
	v_add_co_ci_u32_e32 v9, vcc_lo, 0, v13, vcc_lo
	v_ashrrev_i32_e32 v12, 31, v7
	s_delay_alu instid0(VALU_DEP_3) | instskip(NEXT) | instid1(VALU_DEP_3)
	v_add_co_u32 v3, vcc_lo, v8, v3
	v_add_co_ci_u32_e32 v8, vcc_lo, 0, v9, vcc_lo
	s_delay_alu instid0(VALU_DEP_2) | instskip(NEXT) | instid1(VALU_DEP_2)
	v_add_co_u32 v0, vcc_lo, v0, v3
	v_add_co_ci_u32_e32 v1, vcc_lo, v1, v8, vcc_lo
	s_delay_alu instid0(VALU_DEP_2) | instskip(SKIP_1) | instid1(VALU_DEP_3)
	v_mul_hi_u32 v3, s0, v0
	v_mul_lo_u32 v9, s48, v0
	v_mul_lo_u32 v8, s0, v1
	s_delay_alu instid0(VALU_DEP_1) | instskip(SKIP_1) | instid1(VALU_DEP_2)
	v_add_nc_u32_e32 v3, v3, v8
	v_mul_lo_u32 v8, s0, v0
	v_add_nc_u32_e32 v3, v3, v9
	s_delay_alu instid0(VALU_DEP_2) | instskip(NEXT) | instid1(VALU_DEP_2)
	v_mul_hi_u32 v9, v0, v8
	v_mul_lo_u32 v10, v0, v3
	v_mul_hi_u32 v11, v0, v3
	v_mul_hi_u32 v13, v1, v8
	v_mul_lo_u32 v8, v1, v8
	v_mul_hi_u32 v14, v1, v3
	v_mul_lo_u32 v3, v1, v3
	v_add_co_u32 v9, vcc_lo, v9, v10
	v_add_co_ci_u32_e32 v10, vcc_lo, 0, v11, vcc_lo
	s_delay_alu instid0(VALU_DEP_2) | instskip(NEXT) | instid1(VALU_DEP_2)
	v_add_co_u32 v8, vcc_lo, v9, v8
	v_add_co_ci_u32_e32 v8, vcc_lo, v10, v13, vcc_lo
	v_add_co_ci_u32_e32 v9, vcc_lo, 0, v14, vcc_lo
	v_add_co_u32 v10, vcc_lo, v6, v12
	v_add_co_ci_u32_e32 v11, vcc_lo, v7, v12, vcc_lo
	s_delay_alu instid0(VALU_DEP_4) | instskip(NEXT) | instid1(VALU_DEP_4)
	v_add_co_u32 v3, vcc_lo, v8, v3
	v_add_co_ci_u32_e32 v8, vcc_lo, 0, v9, vcc_lo
	s_delay_alu instid0(VALU_DEP_4) | instskip(NEXT) | instid1(VALU_DEP_3)
	v_xor_b32_e32 v13, v10, v12
	v_add_co_u32 v3, vcc_lo, v0, v3
	s_delay_alu instid0(VALU_DEP_3) | instskip(SKIP_1) | instid1(VALU_DEP_3)
	v_add_co_ci_u32_e32 v14, vcc_lo, v1, v8, vcc_lo
	v_xor_b32_e32 v15, v11, v12
	v_mul_hi_u32 v16, v13, v3
	s_delay_alu instid0(VALU_DEP_3) | instskip(NEXT) | instid1(VALU_DEP_3)
	v_mad_u64_u32 v[0:1], null, v13, v14, 0
	v_mad_u64_u32 v[8:9], null, v15, v3, 0
	;; [unrolled: 1-line block ×3, first 2 shown]
	s_delay_alu instid0(VALU_DEP_3) | instskip(NEXT) | instid1(VALU_DEP_4)
	v_add_co_u32 v0, vcc_lo, v16, v0
	v_add_co_ci_u32_e32 v1, vcc_lo, 0, v1, vcc_lo
	s_delay_alu instid0(VALU_DEP_2) | instskip(NEXT) | instid1(VALU_DEP_2)
	v_add_co_u32 v0, vcc_lo, v0, v8
	v_add_co_ci_u32_e32 v0, vcc_lo, v1, v9, vcc_lo
	v_add_co_ci_u32_e32 v1, vcc_lo, 0, v11, vcc_lo
	s_delay_alu instid0(VALU_DEP_2) | instskip(NEXT) | instid1(VALU_DEP_2)
	v_add_co_u32 v3, vcc_lo, v0, v10
	v_add_co_ci_u32_e32 v8, vcc_lo, 0, v1, vcc_lo
	s_delay_alu instid0(VALU_DEP_2) | instskip(SKIP_1) | instid1(VALU_DEP_3)
	v_mul_lo_u32 v9, s29, v3
	v_mad_u64_u32 v[0:1], null, s28, v3, 0
	v_mul_lo_u32 v10, s28, v8
	s_delay_alu instid0(VALU_DEP_2) | instskip(NEXT) | instid1(VALU_DEP_2)
	v_sub_co_u32 v0, vcc_lo, v13, v0
	v_add3_u32 v1, v1, v10, v9
	s_delay_alu instid0(VALU_DEP_1) | instskip(NEXT) | instid1(VALU_DEP_1)
	v_sub_nc_u32_e32 v9, v15, v1
	v_subrev_co_ci_u32_e64 v9, s0, s29, v9, vcc_lo
	v_add_co_u32 v10, s0, v3, 2
	s_delay_alu instid0(VALU_DEP_1) | instskip(SKIP_3) | instid1(VALU_DEP_3)
	v_add_co_ci_u32_e64 v11, s0, 0, v8, s0
	v_sub_co_u32 v13, s0, v0, s28
	v_sub_co_ci_u32_e32 v1, vcc_lo, v15, v1, vcc_lo
	v_subrev_co_ci_u32_e64 v9, s0, 0, v9, s0
	v_cmp_le_u32_e32 vcc_lo, s28, v13
	s_delay_alu instid0(VALU_DEP_3) | instskip(SKIP_1) | instid1(VALU_DEP_4)
	v_cmp_eq_u32_e64 s0, s29, v1
	v_cndmask_b32_e64 v13, 0, -1, vcc_lo
	v_cmp_le_u32_e32 vcc_lo, s29, v9
	v_cndmask_b32_e64 v14, 0, -1, vcc_lo
	v_cmp_le_u32_e32 vcc_lo, s28, v0
	v_cndmask_b32_e64 v0, 0, -1, vcc_lo
	v_cmp_le_u32_e32 vcc_lo, s29, v1
	v_cndmask_b32_e64 v15, 0, -1, vcc_lo
	v_cmp_eq_u32_e32 vcc_lo, s29, v9
	s_delay_alu instid0(VALU_DEP_2) | instskip(SKIP_3) | instid1(VALU_DEP_3)
	v_cndmask_b32_e64 v0, v15, v0, s0
	v_cndmask_b32_e32 v9, v14, v13, vcc_lo
	v_add_co_u32 v13, vcc_lo, v3, 1
	v_add_co_ci_u32_e32 v14, vcc_lo, 0, v8, vcc_lo
	v_cmp_ne_u32_e32 vcc_lo, 0, v9
	s_delay_alu instid0(VALU_DEP_2) | instskip(NEXT) | instid1(VALU_DEP_4)
	v_cndmask_b32_e32 v1, v14, v11, vcc_lo
	v_cndmask_b32_e32 v9, v13, v10, vcc_lo
	v_cmp_ne_u32_e32 vcc_lo, 0, v0
	v_xor_b32_e32 v0, s2, v12
	s_delay_alu instid0(VALU_DEP_3) | instskip(SKIP_2) | instid1(VALU_DEP_3)
	v_cndmask_b32_e32 v3, v3, v9, vcc_lo
	v_cndmask_b32_e32 v1, v8, v1, vcc_lo
	v_xor_b32_e32 v8, s3, v12
	v_xor_b32_e32 v3, v3, v0
	s_delay_alu instid0(VALU_DEP_2) | instskip(NEXT) | instid1(VALU_DEP_2)
	v_xor_b32_e32 v1, v1, v8
	v_sub_co_u32 v0, vcc_lo, v3, v0
	s_delay_alu instid0(VALU_DEP_2)
	v_sub_co_ci_u32_e32 v1, vcc_lo, v1, v8, vcc_lo
.LBB15_10:                              ;   in Loop: Header=BB15_4 Depth=1
	s_and_not1_saveexec_b32 s0, s1
	s_cbranch_execz .LBB15_12
; %bb.11:                               ;   in Loop: Header=BB15_4 Depth=1
	v_cvt_f32_u32_e32 v0, s4
	s_sub_i32 s1, 0, s4
	s_delay_alu instid0(VALU_DEP_1) | instskip(SKIP_2) | instid1(VALU_DEP_1)
	v_rcp_iflag_f32_e32 v0, v0
	s_waitcnt_depctr 0xfff
	v_mul_f32_e32 v0, 0x4f7ffffe, v0
	v_cvt_u32_f32_e32 v0, v0
	s_delay_alu instid0(VALU_DEP_1) | instskip(NEXT) | instid1(VALU_DEP_1)
	v_mul_lo_u32 v1, s1, v0
	v_mul_hi_u32 v1, v0, v1
	s_delay_alu instid0(VALU_DEP_1) | instskip(NEXT) | instid1(VALU_DEP_1)
	v_add_nc_u32_e32 v0, v0, v1
	v_mul_hi_u32 v0, v6, v0
	s_delay_alu instid0(VALU_DEP_1) | instskip(SKIP_1) | instid1(VALU_DEP_2)
	v_mul_lo_u32 v1, v0, s4
	v_add_nc_u32_e32 v3, 1, v0
	v_sub_nc_u32_e32 v1, v6, v1
	s_delay_alu instid0(VALU_DEP_1) | instskip(SKIP_1) | instid1(VALU_DEP_2)
	v_subrev_nc_u32_e32 v8, s4, v1
	v_cmp_le_u32_e32 vcc_lo, s4, v1
	v_dual_cndmask_b32 v1, v1, v8 :: v_dual_cndmask_b32 v0, v0, v3
	s_delay_alu instid0(VALU_DEP_1) | instskip(NEXT) | instid1(VALU_DEP_2)
	v_cmp_le_u32_e32 vcc_lo, s4, v1
	v_add_nc_u32_e32 v3, 1, v0
	s_delay_alu instid0(VALU_DEP_1)
	v_dual_mov_b32 v1, v2 :: v_dual_cndmask_b32 v0, v0, v3
.LBB15_12:                              ;   in Loop: Header=BB15_4 Depth=1
	s_or_b32 exec_lo, exec_lo, s0
	s_delay_alu instid0(VALU_DEP_1) | instskip(NEXT) | instid1(VALU_DEP_2)
	v_mul_lo_u32 v3, v1, s4
	v_mul_lo_u32 v10, v0, s31
	v_mad_u64_u32 v[8:9], null, v0, s4, 0
	s_mov_b32 s0, exec_lo
	s_delay_alu instid0(VALU_DEP_1) | instskip(NEXT) | instid1(VALU_DEP_2)
	v_add3_u32 v3, v9, v10, v3
	v_sub_co_u32 v8, vcc_lo, v6, v8
	s_delay_alu instid0(VALU_DEP_2) | instskip(NEXT) | instid1(VALU_DEP_2)
	v_sub_co_ci_u32_e32 v3, vcc_lo, v7, v3, vcc_lo
	v_mul_lo_u32 v9, v8, s33
	v_mad_u64_u32 v[10:11], null, v8, s34, 0
	s_delay_alu instid0(VALU_DEP_3) | instskip(NEXT) | instid1(VALU_DEP_2)
	v_mul_lo_u32 v3, v3, s34
	v_sub_co_u32 v8, vcc_lo, v10, s36
	s_delay_alu instid0(VALU_DEP_2) | instskip(NEXT) | instid1(VALU_DEP_1)
	v_add3_u32 v11, v11, v9, v3
	v_subrev_co_ci_u32_e32 v9, vcc_lo, s35, v11, vcc_lo
	s_delay_alu instid0(VALU_DEP_1) | instskip(SKIP_1) | instid1(VALU_DEP_1)
	v_cmp_lt_i64_e32 vcc_lo, 0, v[8:9]
	v_dual_cndmask_b32 v3, 0, v9 :: v_dual_cndmask_b32 v12, 0, v8
	v_add_co_u32 v12, vcc_lo, v12, s36
	s_delay_alu instid0(VALU_DEP_2) | instskip(NEXT) | instid1(VALU_DEP_1)
	v_add_co_ci_u32_e32 v13, vcc_lo, s35, v3, vcc_lo
	v_cmp_ne_u64_e32 vcc_lo, v[12:13], v[10:11]
	v_cndmask_b32_e64 v14, 0, 1, vcc_lo
	s_delay_alu instid0(VALU_DEP_1) | instskip(SKIP_1) | instid1(VALU_DEP_2)
	v_add_co_u32 v3, vcc_lo, v10, v14
	v_add_co_ci_u32_e32 v10, vcc_lo, 0, v11, vcc_lo
	v_sub_co_u32 v12, vcc_lo, v12, v3
	s_delay_alu instid0(VALU_DEP_2) | instskip(NEXT) | instid1(VALU_DEP_1)
	v_sub_co_ci_u32_e32 v13, vcc_lo, v13, v10, vcc_lo
                                        ; implicit-def: $vgpr10_vgpr11
	v_or_b32_e32 v3, s43, v13
	s_delay_alu instid0(VALU_DEP_1)
	v_cmpx_ne_u64_e32 0, v[2:3]
	s_xor_b32 s1, exec_lo, s0
	s_cbranch_execz .LBB15_14
; %bb.13:                               ;   in Loop: Header=BB15_4 Depth=1
	v_cvt_f32_u32_e32 v3, s44
	v_cvt_f32_u32_e32 v10, s43
	s_sub_u32 s0, 0, s44
	s_subb_u32 s2, 0, s43
	s_delay_alu instid0(VALU_DEP_1) | instskip(NEXT) | instid1(VALU_DEP_1)
	v_fmac_f32_e32 v3, 0x4f800000, v10
	v_rcp_f32_e32 v3, v3
	s_waitcnt_depctr 0xfff
	v_mul_f32_e32 v3, 0x5f7ffffc, v3
	s_delay_alu instid0(VALU_DEP_1) | instskip(NEXT) | instid1(VALU_DEP_1)
	v_mul_f32_e32 v10, 0x2f800000, v3
	v_trunc_f32_e32 v10, v10
	s_delay_alu instid0(VALU_DEP_1) | instskip(SKIP_1) | instid1(VALU_DEP_2)
	v_fmac_f32_e32 v3, 0xcf800000, v10
	v_cvt_u32_f32_e32 v10, v10
	v_cvt_u32_f32_e32 v3, v3
	s_delay_alu instid0(VALU_DEP_2) | instskip(NEXT) | instid1(VALU_DEP_2)
	v_mul_lo_u32 v11, s0, v10
	v_mul_hi_u32 v15, s0, v3
	v_mul_lo_u32 v16, s2, v3
	s_delay_alu instid0(VALU_DEP_2) | instskip(SKIP_1) | instid1(VALU_DEP_2)
	v_add_nc_u32_e32 v11, v15, v11
	v_mul_lo_u32 v15, s0, v3
	v_add_nc_u32_e32 v11, v11, v16
	s_delay_alu instid0(VALU_DEP_2) | instskip(NEXT) | instid1(VALU_DEP_2)
	v_mul_hi_u32 v16, v3, v15
	v_mul_lo_u32 v17, v3, v11
	v_mul_hi_u32 v19, v3, v11
	v_mul_hi_u32 v20, v10, v15
	v_mul_lo_u32 v15, v10, v15
	v_mul_hi_u32 v21, v10, v11
	v_mul_lo_u32 v11, v10, v11
	v_add_co_u32 v16, vcc_lo, v16, v17
	v_add_co_ci_u32_e32 v17, vcc_lo, 0, v19, vcc_lo
	s_delay_alu instid0(VALU_DEP_2) | instskip(NEXT) | instid1(VALU_DEP_2)
	v_add_co_u32 v15, vcc_lo, v16, v15
	v_add_co_ci_u32_e32 v15, vcc_lo, v17, v20, vcc_lo
	v_add_co_ci_u32_e32 v16, vcc_lo, 0, v21, vcc_lo
	s_delay_alu instid0(VALU_DEP_2) | instskip(NEXT) | instid1(VALU_DEP_2)
	v_add_co_u32 v11, vcc_lo, v15, v11
	v_add_co_ci_u32_e32 v15, vcc_lo, 0, v16, vcc_lo
	s_delay_alu instid0(VALU_DEP_2) | instskip(NEXT) | instid1(VALU_DEP_2)
	v_add_co_u32 v3, vcc_lo, v3, v11
	v_add_co_ci_u32_e32 v10, vcc_lo, v10, v15, vcc_lo
	s_delay_alu instid0(VALU_DEP_2) | instskip(SKIP_1) | instid1(VALU_DEP_3)
	v_mul_hi_u32 v11, s0, v3
	v_mul_lo_u32 v16, s2, v3
	v_mul_lo_u32 v15, s0, v10
	s_delay_alu instid0(VALU_DEP_1) | instskip(SKIP_1) | instid1(VALU_DEP_2)
	v_add_nc_u32_e32 v11, v11, v15
	v_mul_lo_u32 v15, s0, v3
	v_add_nc_u32_e32 v11, v11, v16
	s_delay_alu instid0(VALU_DEP_2) | instskip(NEXT) | instid1(VALU_DEP_2)
	v_mul_hi_u32 v16, v3, v15
	v_mul_lo_u32 v17, v3, v11
	v_mul_hi_u32 v19, v3, v11
	v_mul_hi_u32 v20, v10, v15
	v_mul_lo_u32 v15, v10, v15
	v_mul_hi_u32 v21, v10, v11
	v_mul_lo_u32 v11, v10, v11
	v_add_co_u32 v16, vcc_lo, v16, v17
	v_add_co_ci_u32_e32 v17, vcc_lo, 0, v19, vcc_lo
	s_delay_alu instid0(VALU_DEP_2) | instskip(NEXT) | instid1(VALU_DEP_2)
	v_add_co_u32 v15, vcc_lo, v16, v15
	v_add_co_ci_u32_e32 v15, vcc_lo, v17, v20, vcc_lo
	v_add_co_ci_u32_e32 v16, vcc_lo, 0, v21, vcc_lo
	s_delay_alu instid0(VALU_DEP_2) | instskip(NEXT) | instid1(VALU_DEP_2)
	v_add_co_u32 v11, vcc_lo, v15, v11
	v_add_co_ci_u32_e32 v15, vcc_lo, 0, v16, vcc_lo
	s_delay_alu instid0(VALU_DEP_2) | instskip(NEXT) | instid1(VALU_DEP_2)
	v_add_co_u32 v3, vcc_lo, v3, v11
	v_add_co_ci_u32_e32 v17, vcc_lo, v10, v15, vcc_lo
	s_delay_alu instid0(VALU_DEP_2) | instskip(SKIP_1) | instid1(VALU_DEP_3)
	v_mul_hi_u32 v21, v12, v3
	v_mad_u64_u32 v[15:16], null, v13, v3, 0
	v_mad_u64_u32 v[10:11], null, v12, v17, 0
	;; [unrolled: 1-line block ×3, first 2 shown]
	s_delay_alu instid0(VALU_DEP_2) | instskip(NEXT) | instid1(VALU_DEP_3)
	v_add_co_u32 v3, vcc_lo, v21, v10
	v_add_co_ci_u32_e32 v10, vcc_lo, 0, v11, vcc_lo
	s_delay_alu instid0(VALU_DEP_2) | instskip(NEXT) | instid1(VALU_DEP_2)
	v_add_co_u32 v3, vcc_lo, v3, v15
	v_add_co_ci_u32_e32 v3, vcc_lo, v10, v16, vcc_lo
	v_add_co_ci_u32_e32 v10, vcc_lo, 0, v20, vcc_lo
	s_delay_alu instid0(VALU_DEP_2) | instskip(NEXT) | instid1(VALU_DEP_2)
	v_add_co_u32 v3, vcc_lo, v3, v19
	v_add_co_ci_u32_e32 v15, vcc_lo, 0, v10, vcc_lo
	s_delay_alu instid0(VALU_DEP_2) | instskip(SKIP_1) | instid1(VALU_DEP_3)
	v_mul_lo_u32 v16, s43, v3
	v_mad_u64_u32 v[10:11], null, s44, v3, 0
	v_mul_lo_u32 v17, s44, v15
	s_delay_alu instid0(VALU_DEP_2) | instskip(NEXT) | instid1(VALU_DEP_2)
	v_sub_co_u32 v10, vcc_lo, v12, v10
	v_add3_u32 v11, v11, v17, v16
	s_delay_alu instid0(VALU_DEP_1) | instskip(NEXT) | instid1(VALU_DEP_1)
	v_sub_nc_u32_e32 v16, v13, v11
	v_subrev_co_ci_u32_e64 v12, s0, s43, v16, vcc_lo
	v_add_co_u32 v16, s0, v3, 2
	s_delay_alu instid0(VALU_DEP_1) | instskip(SKIP_3) | instid1(VALU_DEP_3)
	v_add_co_ci_u32_e64 v17, s0, 0, v15, s0
	v_sub_co_u32 v19, s0, v10, s44
	v_sub_co_ci_u32_e32 v11, vcc_lo, v13, v11, vcc_lo
	v_subrev_co_ci_u32_e64 v12, s0, 0, v12, s0
	v_cmp_le_u32_e32 vcc_lo, s44, v19
	s_delay_alu instid0(VALU_DEP_3) | instskip(SKIP_1) | instid1(VALU_DEP_4)
	v_cmp_eq_u32_e64 s0, s43, v11
	v_cndmask_b32_e64 v13, 0, -1, vcc_lo
	v_cmp_le_u32_e32 vcc_lo, s43, v12
	v_cndmask_b32_e64 v19, 0, -1, vcc_lo
	v_cmp_le_u32_e32 vcc_lo, s44, v10
	;; [unrolled: 2-line block ×3, first 2 shown]
	v_cndmask_b32_e64 v20, 0, -1, vcc_lo
	v_cmp_eq_u32_e32 vcc_lo, s43, v12
	s_delay_alu instid0(VALU_DEP_2) | instskip(SKIP_3) | instid1(VALU_DEP_3)
	v_cndmask_b32_e64 v10, v20, v10, s0
	v_cndmask_b32_e32 v12, v19, v13, vcc_lo
	v_add_co_u32 v13, vcc_lo, v3, 1
	v_add_co_ci_u32_e32 v19, vcc_lo, 0, v15, vcc_lo
	v_cmp_ne_u32_e32 vcc_lo, 0, v12
	s_delay_alu instid0(VALU_DEP_2) | instskip(SKIP_1) | instid1(VALU_DEP_2)
	v_dual_cndmask_b32 v11, v19, v17 :: v_dual_cndmask_b32 v12, v13, v16
	v_cmp_ne_u32_e32 vcc_lo, 0, v10
	v_cndmask_b32_e32 v11, v15, v11, vcc_lo
	s_delay_alu instid0(VALU_DEP_3)
	v_cndmask_b32_e32 v10, v3, v12, vcc_lo
                                        ; implicit-def: $vgpr12
.LBB15_14:                              ;   in Loop: Header=BB15_4 Depth=1
	s_and_not1_saveexec_b32 s0, s1
	s_cbranch_execz .LBB15_16
; %bb.15:                               ;   in Loop: Header=BB15_4 Depth=1
	v_cvt_f32_u32_e32 v3, s44
	s_sub_i32 s1, 0, s44
	s_delay_alu instid0(VALU_DEP_1) | instskip(SKIP_2) | instid1(VALU_DEP_1)
	v_rcp_iflag_f32_e32 v3, v3
	s_waitcnt_depctr 0xfff
	v_mul_f32_e32 v3, 0x4f7ffffe, v3
	v_cvt_u32_f32_e32 v3, v3
	s_delay_alu instid0(VALU_DEP_1) | instskip(NEXT) | instid1(VALU_DEP_1)
	v_mul_lo_u32 v10, s1, v3
	v_mul_hi_u32 v10, v3, v10
	s_delay_alu instid0(VALU_DEP_1) | instskip(NEXT) | instid1(VALU_DEP_1)
	v_add_nc_u32_e32 v3, v3, v10
	v_mul_hi_u32 v3, v12, v3
	s_delay_alu instid0(VALU_DEP_1) | instskip(SKIP_1) | instid1(VALU_DEP_2)
	v_mul_lo_u32 v10, v3, s44
	v_add_nc_u32_e32 v11, 1, v3
	v_sub_nc_u32_e32 v10, v12, v10
	s_delay_alu instid0(VALU_DEP_1) | instskip(SKIP_1) | instid1(VALU_DEP_2)
	v_subrev_nc_u32_e32 v12, s44, v10
	v_cmp_le_u32_e32 vcc_lo, s44, v10
	v_dual_cndmask_b32 v10, v10, v12 :: v_dual_cndmask_b32 v3, v3, v11
	s_delay_alu instid0(VALU_DEP_1) | instskip(NEXT) | instid1(VALU_DEP_2)
	v_cmp_le_u32_e32 vcc_lo, s44, v10
	v_add_nc_u32_e32 v11, 1, v3
	s_delay_alu instid0(VALU_DEP_1)
	v_dual_cndmask_b32 v10, v3, v11 :: v_dual_mov_b32 v11, v2
.LBB15_16:                              ;   in Loop: Header=BB15_4 Depth=1
	s_or_b32 exec_lo, exec_lo, s0
	v_mul_lo_u32 v3, v7, s5
	v_mul_lo_u32 v7, v6, s30
	v_mad_u64_u32 v[12:13], null, v6, s5, 0
	s_mov_b32 s0, exec_lo
	s_delay_alu instid0(VALU_DEP_1) | instskip(NEXT) | instid1(VALU_DEP_2)
	v_add3_u32 v3, v13, v7, v3
	v_sub_co_u32 v6, vcc_lo, v4, v12
	s_delay_alu instid0(VALU_DEP_2) | instskip(NEXT) | instid1(VALU_DEP_2)
	v_sub_co_ci_u32_e32 v3, vcc_lo, v5, v3, vcc_lo
	v_mul_lo_u32 v7, v6, s37
	v_mad_u64_u32 v[12:13], null, v6, s38, 0
	s_delay_alu instid0(VALU_DEP_3) | instskip(NEXT) | instid1(VALU_DEP_2)
	v_mul_lo_u32 v3, v3, s38
	v_sub_co_u32 v6, vcc_lo, v12, s40
	s_delay_alu instid0(VALU_DEP_2) | instskip(NEXT) | instid1(VALU_DEP_1)
	v_add3_u32 v13, v13, v7, v3
	v_subrev_co_ci_u32_e32 v7, vcc_lo, s39, v13, vcc_lo
	s_delay_alu instid0(VALU_DEP_1) | instskip(SKIP_2) | instid1(VALU_DEP_2)
	v_cmp_lt_i64_e32 vcc_lo, 0, v[6:7]
	v_cndmask_b32_e32 v15, 0, v6, vcc_lo
	v_cndmask_b32_e32 v3, 0, v7, vcc_lo
	v_add_co_u32 v16, vcc_lo, v15, s40
	s_delay_alu instid0(VALU_DEP_2) | instskip(NEXT) | instid1(VALU_DEP_1)
	v_add_co_ci_u32_e32 v17, vcc_lo, s39, v3, vcc_lo
	v_cmp_ne_u64_e32 vcc_lo, v[16:17], v[12:13]
	v_cndmask_b32_e64 v15, 0, 1, vcc_lo
	s_delay_alu instid0(VALU_DEP_1) | instskip(SKIP_1) | instid1(VALU_DEP_2)
	v_add_co_u32 v3, vcc_lo, v12, v15
	v_add_co_ci_u32_e32 v12, vcc_lo, 0, v13, vcc_lo
	v_sub_co_u32 v16, vcc_lo, v16, v3
	s_delay_alu instid0(VALU_DEP_2) | instskip(NEXT) | instid1(VALU_DEP_1)
	v_sub_co_ci_u32_e32 v17, vcc_lo, v17, v12, vcc_lo
                                        ; implicit-def: $vgpr12_vgpr13
	v_or_b32_e32 v3, s45, v17
	s_delay_alu instid0(VALU_DEP_1)
	v_cmpx_ne_u64_e32 0, v[2:3]
	s_xor_b32 s1, exec_lo, s0
	s_cbranch_execz .LBB15_18
; %bb.17:                               ;   in Loop: Header=BB15_4 Depth=1
	v_cvt_f32_u32_e32 v3, s13
	v_cvt_f32_u32_e32 v12, s45
	s_sub_u32 s0, 0, s13
	s_subb_u32 s2, 0, s45
	s_delay_alu instid0(VALU_DEP_1) | instskip(NEXT) | instid1(VALU_DEP_1)
	v_fmac_f32_e32 v3, 0x4f800000, v12
	v_rcp_f32_e32 v3, v3
	s_waitcnt_depctr 0xfff
	v_mul_f32_e32 v3, 0x5f7ffffc, v3
	s_delay_alu instid0(VALU_DEP_1) | instskip(NEXT) | instid1(VALU_DEP_1)
	v_mul_f32_e32 v12, 0x2f800000, v3
	v_trunc_f32_e32 v12, v12
	s_delay_alu instid0(VALU_DEP_1) | instskip(SKIP_1) | instid1(VALU_DEP_2)
	v_fmac_f32_e32 v3, 0xcf800000, v12
	v_cvt_u32_f32_e32 v12, v12
	v_cvt_u32_f32_e32 v3, v3
	s_delay_alu instid0(VALU_DEP_2) | instskip(NEXT) | instid1(VALU_DEP_2)
	v_mul_lo_u32 v13, s0, v12
	v_mul_hi_u32 v19, s0, v3
	v_mul_lo_u32 v20, s2, v3
	s_delay_alu instid0(VALU_DEP_2) | instskip(SKIP_1) | instid1(VALU_DEP_2)
	v_add_nc_u32_e32 v13, v19, v13
	v_mul_lo_u32 v19, s0, v3
	v_add_nc_u32_e32 v13, v13, v20
	s_delay_alu instid0(VALU_DEP_2) | instskip(NEXT) | instid1(VALU_DEP_2)
	v_mul_hi_u32 v20, v3, v19
	v_mul_lo_u32 v21, v3, v13
	v_mul_hi_u32 v22, v3, v13
	v_mul_hi_u32 v23, v12, v19
	v_mul_lo_u32 v19, v12, v19
	v_mul_hi_u32 v24, v12, v13
	v_mul_lo_u32 v13, v12, v13
	v_add_co_u32 v20, vcc_lo, v20, v21
	v_add_co_ci_u32_e32 v21, vcc_lo, 0, v22, vcc_lo
	s_delay_alu instid0(VALU_DEP_2) | instskip(NEXT) | instid1(VALU_DEP_2)
	v_add_co_u32 v19, vcc_lo, v20, v19
	v_add_co_ci_u32_e32 v19, vcc_lo, v21, v23, vcc_lo
	v_add_co_ci_u32_e32 v20, vcc_lo, 0, v24, vcc_lo
	s_delay_alu instid0(VALU_DEP_2) | instskip(NEXT) | instid1(VALU_DEP_2)
	v_add_co_u32 v13, vcc_lo, v19, v13
	v_add_co_ci_u32_e32 v19, vcc_lo, 0, v20, vcc_lo
	s_delay_alu instid0(VALU_DEP_2) | instskip(NEXT) | instid1(VALU_DEP_2)
	v_add_co_u32 v3, vcc_lo, v3, v13
	v_add_co_ci_u32_e32 v12, vcc_lo, v12, v19, vcc_lo
	s_delay_alu instid0(VALU_DEP_2) | instskip(SKIP_1) | instid1(VALU_DEP_3)
	v_mul_hi_u32 v13, s0, v3
	v_mul_lo_u32 v20, s2, v3
	v_mul_lo_u32 v19, s0, v12
	s_delay_alu instid0(VALU_DEP_1) | instskip(SKIP_1) | instid1(VALU_DEP_2)
	v_add_nc_u32_e32 v13, v13, v19
	v_mul_lo_u32 v19, s0, v3
	v_add_nc_u32_e32 v13, v13, v20
	s_delay_alu instid0(VALU_DEP_2) | instskip(NEXT) | instid1(VALU_DEP_2)
	v_mul_hi_u32 v20, v3, v19
	v_mul_lo_u32 v21, v3, v13
	v_mul_hi_u32 v22, v3, v13
	v_mul_hi_u32 v23, v12, v19
	v_mul_lo_u32 v19, v12, v19
	v_mul_hi_u32 v24, v12, v13
	v_mul_lo_u32 v13, v12, v13
	v_add_co_u32 v20, vcc_lo, v20, v21
	v_add_co_ci_u32_e32 v21, vcc_lo, 0, v22, vcc_lo
	s_delay_alu instid0(VALU_DEP_2) | instskip(NEXT) | instid1(VALU_DEP_2)
	v_add_co_u32 v19, vcc_lo, v20, v19
	v_add_co_ci_u32_e32 v19, vcc_lo, v21, v23, vcc_lo
	v_add_co_ci_u32_e32 v20, vcc_lo, 0, v24, vcc_lo
	s_delay_alu instid0(VALU_DEP_2) | instskip(NEXT) | instid1(VALU_DEP_2)
	v_add_co_u32 v13, vcc_lo, v19, v13
	v_add_co_ci_u32_e32 v19, vcc_lo, 0, v20, vcc_lo
	s_delay_alu instid0(VALU_DEP_2) | instskip(NEXT) | instid1(VALU_DEP_2)
	v_add_co_u32 v3, vcc_lo, v3, v13
	v_add_co_ci_u32_e32 v23, vcc_lo, v12, v19, vcc_lo
	s_delay_alu instid0(VALU_DEP_2) | instskip(SKIP_1) | instid1(VALU_DEP_3)
	v_mul_hi_u32 v24, v16, v3
	v_mad_u64_u32 v[19:20], null, v17, v3, 0
	v_mad_u64_u32 v[12:13], null, v16, v23, 0
	;; [unrolled: 1-line block ×3, first 2 shown]
	s_delay_alu instid0(VALU_DEP_2) | instskip(NEXT) | instid1(VALU_DEP_3)
	v_add_co_u32 v3, vcc_lo, v24, v12
	v_add_co_ci_u32_e32 v12, vcc_lo, 0, v13, vcc_lo
	s_delay_alu instid0(VALU_DEP_2) | instskip(NEXT) | instid1(VALU_DEP_2)
	v_add_co_u32 v3, vcc_lo, v3, v19
	v_add_co_ci_u32_e32 v3, vcc_lo, v12, v20, vcc_lo
	v_add_co_ci_u32_e32 v12, vcc_lo, 0, v22, vcc_lo
	s_delay_alu instid0(VALU_DEP_2) | instskip(NEXT) | instid1(VALU_DEP_2)
	v_add_co_u32 v3, vcc_lo, v3, v21
	v_add_co_ci_u32_e32 v19, vcc_lo, 0, v12, vcc_lo
	s_delay_alu instid0(VALU_DEP_2) | instskip(SKIP_1) | instid1(VALU_DEP_3)
	v_mul_lo_u32 v20, s45, v3
	v_mad_u64_u32 v[12:13], null, s13, v3, 0
	v_mul_lo_u32 v21, s13, v19
	s_delay_alu instid0(VALU_DEP_2) | instskip(NEXT) | instid1(VALU_DEP_2)
	v_sub_co_u32 v12, vcc_lo, v16, v12
	v_add3_u32 v13, v13, v21, v20
	s_delay_alu instid0(VALU_DEP_1) | instskip(NEXT) | instid1(VALU_DEP_1)
	v_sub_nc_u32_e32 v20, v17, v13
	v_subrev_co_ci_u32_e64 v16, s0, s45, v20, vcc_lo
	v_add_co_u32 v20, s0, v3, 2
	s_delay_alu instid0(VALU_DEP_1) | instskip(SKIP_3) | instid1(VALU_DEP_3)
	v_add_co_ci_u32_e64 v21, s0, 0, v19, s0
	v_sub_co_u32 v22, s0, v12, s13
	v_sub_co_ci_u32_e32 v13, vcc_lo, v17, v13, vcc_lo
	v_subrev_co_ci_u32_e64 v16, s0, 0, v16, s0
	v_cmp_le_u32_e32 vcc_lo, s13, v22
	s_delay_alu instid0(VALU_DEP_3) | instskip(SKIP_1) | instid1(VALU_DEP_4)
	v_cmp_eq_u32_e64 s0, s45, v13
	v_cndmask_b32_e64 v17, 0, -1, vcc_lo
	v_cmp_le_u32_e32 vcc_lo, s45, v16
	v_cndmask_b32_e64 v22, 0, -1, vcc_lo
	v_cmp_le_u32_e32 vcc_lo, s13, v12
	;; [unrolled: 2-line block ×3, first 2 shown]
	v_cndmask_b32_e64 v23, 0, -1, vcc_lo
	v_cmp_eq_u32_e32 vcc_lo, s45, v16
	s_delay_alu instid0(VALU_DEP_2) | instskip(SKIP_3) | instid1(VALU_DEP_3)
	v_cndmask_b32_e64 v12, v23, v12, s0
	v_cndmask_b32_e32 v16, v22, v17, vcc_lo
	v_add_co_u32 v17, vcc_lo, v3, 1
	v_add_co_ci_u32_e32 v22, vcc_lo, 0, v19, vcc_lo
	v_cmp_ne_u32_e32 vcc_lo, 0, v16
	s_delay_alu instid0(VALU_DEP_2) | instskip(SKIP_1) | instid1(VALU_DEP_2)
	v_dual_cndmask_b32 v13, v22, v21 :: v_dual_cndmask_b32 v16, v17, v20
	v_cmp_ne_u32_e32 vcc_lo, 0, v12
	v_cndmask_b32_e32 v12, v3, v16, vcc_lo
	s_delay_alu instid0(VALU_DEP_3)
	v_cndmask_b32_e32 v13, v19, v13, vcc_lo
                                        ; implicit-def: $vgpr16
.LBB15_18:                              ;   in Loop: Header=BB15_4 Depth=1
	s_and_not1_saveexec_b32 s0, s1
	s_cbranch_execz .LBB15_20
; %bb.19:                               ;   in Loop: Header=BB15_4 Depth=1
	v_cvt_f32_u32_e32 v3, s13
	s_sub_i32 s1, 0, s13
	s_delay_alu instid0(VALU_DEP_1) | instskip(SKIP_2) | instid1(VALU_DEP_1)
	v_rcp_iflag_f32_e32 v3, v3
	s_waitcnt_depctr 0xfff
	v_mul_f32_e32 v3, 0x4f7ffffe, v3
	v_cvt_u32_f32_e32 v3, v3
	s_delay_alu instid0(VALU_DEP_1) | instskip(NEXT) | instid1(VALU_DEP_1)
	v_mul_lo_u32 v12, s1, v3
	v_mul_hi_u32 v12, v3, v12
	s_delay_alu instid0(VALU_DEP_1) | instskip(NEXT) | instid1(VALU_DEP_1)
	v_add_nc_u32_e32 v3, v3, v12
	v_mul_hi_u32 v3, v16, v3
	s_delay_alu instid0(VALU_DEP_1) | instskip(SKIP_1) | instid1(VALU_DEP_2)
	v_mul_lo_u32 v12, v3, s13
	v_add_nc_u32_e32 v13, 1, v3
	v_sub_nc_u32_e32 v12, v16, v12
	s_delay_alu instid0(VALU_DEP_1) | instskip(SKIP_1) | instid1(VALU_DEP_2)
	v_subrev_nc_u32_e32 v16, s13, v12
	v_cmp_le_u32_e32 vcc_lo, s13, v12
	v_dual_cndmask_b32 v12, v12, v16 :: v_dual_cndmask_b32 v3, v3, v13
	s_delay_alu instid0(VALU_DEP_1) | instskip(NEXT) | instid1(VALU_DEP_2)
	v_cmp_le_u32_e32 vcc_lo, s13, v12
	v_add_nc_u32_e32 v13, 1, v3
	s_delay_alu instid0(VALU_DEP_1)
	v_dual_cndmask_b32 v12, v3, v13 :: v_dual_mov_b32 v13, v2
.LBB15_20:                              ;   in Loop: Header=BB15_4 Depth=1
	s_or_b32 exec_lo, exec_lo, s0
	v_add_co_u32 v3, vcc_lo, v10, v14
	v_add_co_ci_u32_e32 v10, vcc_lo, 0, v11, vcc_lo
	s_delay_alu instid0(VALU_DEP_3) | instskip(SKIP_1) | instid1(VALU_DEP_4)
	v_add_co_u32 v15, vcc_lo, v12, v15
	v_add_co_ci_u32_e32 v12, vcc_lo, 0, v13, vcc_lo
	v_mul_lo_u32 v14, v3, s7
	s_delay_alu instid0(VALU_DEP_4)
	v_mul_lo_u32 v16, v10, s6
	v_mad_u64_u32 v[10:11], null, v3, s6, v[8:9]
	v_mul_lo_u32 v3, v15, s9
	v_mul_lo_u32 v9, v12, s8
	v_mad_u64_u32 v[12:13], null, v15, s8, v[6:7]
	s_mov_b32 s3, exec_lo
	s_delay_alu instid0(VALU_DEP_4) | instskip(NEXT) | instid1(VALU_DEP_2)
	v_add3_u32 v7, v16, v11, v14
	v_add3_u32 v13, v9, v13, v3
	v_add_nc_u32_e32 v3, s41, v8
	s_delay_alu instid0(VALU_DEP_3) | instskip(NEXT) | instid1(VALU_DEP_3)
	v_mul_lo_u32 v11, v7, s14
	v_mad_u64_u32 v[7:8], null, v10, s14, v[12:13]
	v_mul_lo_u32 v13, v10, s15
	s_delay_alu instid0(VALU_DEP_4) | instskip(SKIP_1) | instid1(VALU_DEP_3)
	v_min_i32_e32 v9, s12, v3
	v_mov_b32_e32 v3, 0xffffff80
	v_add3_u32 v8, v11, v8, v13
	s_delay_alu instid0(VALU_DEP_3)
	v_cmpx_gt_i32_e64 v9, v10
	s_cbranch_execz .LBB15_3
; %bb.21:                               ;   in Loop: Header=BB15_4 Depth=1
	v_add_nc_u32_e32 v3, s42, v6
	v_mad_u64_u32 v[14:15], null, s10, v0, s[18:19]
	v_mul_lo_u32 v1, s10, v1
	v_mul_lo_u32 v11, s11, v0
	s_delay_alu instid0(VALU_DEP_4) | instskip(SKIP_3) | instid1(VALU_DEP_3)
	v_min_i32_e32 v6, s14, v3
	v_ashrrev_i32_e32 v0, 31, v10
	v_mov_b32_e32 v3, 0xffffff80
	s_mov_b32 s28, 0
	v_cmp_gt_i32_e32 vcc_lo, v6, v12
	v_add3_u32 v15, v11, v15, v1
	s_branch .LBB15_23
.LBB15_22:                              ;   in Loop: Header=BB15_23 Depth=2
	s_or_b32 exec_lo, exec_lo, s29
	v_add_nc_u32_e32 v10, s24, v10
	s_delay_alu instid0(VALU_DEP_1) | instskip(SKIP_1) | instid1(VALU_DEP_2)
	v_cmp_ge_i32_e64 s0, v10, v9
	v_ashrrev_i32_e32 v0, 31, v10
	s_or_b32 s28, s0, s28
	s_delay_alu instid0(SALU_CYCLE_1)
	s_and_not1_b32 exec_lo, exec_lo, s28
	s_cbranch_execz .LBB15_2
.LBB15_23:                              ;   Parent Loop BB15_4 Depth=1
                                        ; =>  This Loop Header: Depth=2
                                        ;       Child Loop BB15_25 Depth 3
	s_and_saveexec_b32 s29, vcc_lo
	s_cbranch_execz .LBB15_22
; %bb.24:                               ;   in Loop: Header=BB15_23 Depth=2
	v_ashrrev_i32_e32 v13, 31, v12
	v_mul_lo_u32 v11, v10, s15
	v_mul_lo_u32 v16, v0, s14
	s_mov_b32 s48, 0
	s_delay_alu instid0(VALU_DEP_3) | instskip(NEXT) | instid1(VALU_DEP_1)
	v_mad_u64_u32 v[0:1], null, v10, s14, v[12:13]
	v_add3_u32 v1, v16, v1, v11
	v_mov_b32_e32 v11, v12
	s_delay_alu instid0(VALU_DEP_2) | instskip(NEXT) | instid1(VALU_DEP_1)
	v_lshlrev_b64 v[16:17], 1, v[0:1]
	v_add_co_u32 v16, s0, v14, v16
	s_delay_alu instid0(VALU_DEP_1)
	v_add_co_ci_u32_e64 v17, s0, v15, v17, s0
	.p2align	6
.LBB15_25:                              ;   Parent Loop BB15_4 Depth=1
                                        ;     Parent Loop BB15_23 Depth=2
                                        ; =>    This Inner Loop Header: Depth=3
	global_load_u16 v13, v[16:17], off
	v_lshlrev_b32_e32 v19, 16, v3
	v_add_nc_u32_e32 v11, s25, v11
	v_add_co_u32 v16, s0, v16, s26
	s_delay_alu instid0(VALU_DEP_1) | instskip(NEXT) | instid1(VALU_DEP_3)
	v_add_co_ci_u32_e64 v17, s0, s27, v17, s0
	v_cmp_ge_i32_e64 s0, v11, v6
	s_waitcnt vmcnt(0)
	v_lshlrev_b32_e32 v20, 16, v13
	s_delay_alu instid0(VALU_DEP_1) | instskip(SKIP_1) | instid1(VALU_DEP_1)
	v_cmp_gt_f32_e64 s1, v20, v19
	v_cmp_u_f32_e64 s2, v20, v20
	s_or_b32 s1, s1, s2
	s_or_b32 s48, s0, s48
	v_cndmask_b32_e64 v3, v3, v13, s1
	v_cndmask_b32_e64 v8, v8, v1, s1
	;; [unrolled: 1-line block ×3, first 2 shown]
	v_add_co_u32 v0, s1, v0, s8
	s_delay_alu instid0(VALU_DEP_1)
	v_add_co_ci_u32_e64 v1, s1, s9, v1, s1
	s_and_not1_b32 exec_lo, exec_lo, s48
	s_cbranch_execnz .LBB15_25
; %bb.26:                               ;   in Loop: Header=BB15_23 Depth=2
	s_or_b32 exec_lo, exec_lo, s48
	s_branch .LBB15_22
.LBB15_27:
	s_nop 0
	s_sendmsg sendmsg(MSG_DEALLOC_VGPRS)
	s_endpgm
	.section	.rodata,"a",@progbits
	.p2align	6, 0x0
	.amdhsa_kernel _ZN2at6native12_GLOBAL__N_121max_pool_forward_nchwIN3c108BFloat16ElEEvT0_PKT_llliiiiiiiiiiPS6_Pl
		.amdhsa_group_segment_fixed_size 0
		.amdhsa_private_segment_fixed_size 0
		.amdhsa_kernarg_size 352
		.amdhsa_user_sgpr_count 15
		.amdhsa_user_sgpr_dispatch_ptr 0
		.amdhsa_user_sgpr_queue_ptr 0
		.amdhsa_user_sgpr_kernarg_segment_ptr 1
		.amdhsa_user_sgpr_dispatch_id 0
		.amdhsa_user_sgpr_private_segment_size 0
		.amdhsa_wavefront_size32 1
		.amdhsa_uses_dynamic_stack 0
		.amdhsa_enable_private_segment 0
		.amdhsa_system_sgpr_workgroup_id_x 1
		.amdhsa_system_sgpr_workgroup_id_y 0
		.amdhsa_system_sgpr_workgroup_id_z 0
		.amdhsa_system_sgpr_workgroup_info 0
		.amdhsa_system_vgpr_workitem_id 0
		.amdhsa_next_free_vgpr 25
		.amdhsa_next_free_sgpr 49
		.amdhsa_reserve_vcc 1
		.amdhsa_float_round_mode_32 0
		.amdhsa_float_round_mode_16_64 0
		.amdhsa_float_denorm_mode_32 3
		.amdhsa_float_denorm_mode_16_64 3
		.amdhsa_dx10_clamp 1
		.amdhsa_ieee_mode 1
		.amdhsa_fp16_overflow 0
		.amdhsa_workgroup_processor_mode 1
		.amdhsa_memory_ordered 1
		.amdhsa_forward_progress 0
		.amdhsa_shared_vgpr_count 0
		.amdhsa_exception_fp_ieee_invalid_op 0
		.amdhsa_exception_fp_denorm_src 0
		.amdhsa_exception_fp_ieee_div_zero 0
		.amdhsa_exception_fp_ieee_overflow 0
		.amdhsa_exception_fp_ieee_underflow 0
		.amdhsa_exception_fp_ieee_inexact 0
		.amdhsa_exception_int_div_zero 0
	.end_amdhsa_kernel
	.section	.text._ZN2at6native12_GLOBAL__N_121max_pool_forward_nchwIN3c108BFloat16ElEEvT0_PKT_llliiiiiiiiiiPS6_Pl,"axG",@progbits,_ZN2at6native12_GLOBAL__N_121max_pool_forward_nchwIN3c108BFloat16ElEEvT0_PKT_llliiiiiiiiiiPS6_Pl,comdat
.Lfunc_end15:
	.size	_ZN2at6native12_GLOBAL__N_121max_pool_forward_nchwIN3c108BFloat16ElEEvT0_PKT_llliiiiiiiiiiPS6_Pl, .Lfunc_end15-_ZN2at6native12_GLOBAL__N_121max_pool_forward_nchwIN3c108BFloat16ElEEvT0_PKT_llliiiiiiiiiiPS6_Pl
                                        ; -- End function
	.section	.AMDGPU.csdata,"",@progbits
; Kernel info:
; codeLenInByte = 5092
; NumSgprs: 51
; NumVgprs: 25
; ScratchSize: 0
; MemoryBound: 0
; FloatMode: 240
; IeeeMode: 1
; LDSByteSize: 0 bytes/workgroup (compile time only)
; SGPRBlocks: 6
; VGPRBlocks: 3
; NumSGPRsForWavesPerEU: 51
; NumVGPRsForWavesPerEU: 25
; Occupancy: 16
; WaveLimiterHint : 0
; COMPUTE_PGM_RSRC2:SCRATCH_EN: 0
; COMPUTE_PGM_RSRC2:USER_SGPR: 15
; COMPUTE_PGM_RSRC2:TRAP_HANDLER: 0
; COMPUTE_PGM_RSRC2:TGID_X_EN: 1
; COMPUTE_PGM_RSRC2:TGID_Y_EN: 0
; COMPUTE_PGM_RSRC2:TGID_Z_EN: 0
; COMPUTE_PGM_RSRC2:TIDIG_COMP_CNT: 0
	.section	.text._ZN2at6native12_GLOBAL__N_122max_pool_backward_nhwcIddEEvPKT_PKlillliiiiiiiiiiiiiiiPS3_,"axG",@progbits,_ZN2at6native12_GLOBAL__N_122max_pool_backward_nhwcIddEEvPKT_PKlillliiiiiiiiiiiiiiiPS3_,comdat
	.globl	_ZN2at6native12_GLOBAL__N_122max_pool_backward_nhwcIddEEvPKT_PKlillliiiiiiiiiiiiiiiPS3_ ; -- Begin function _ZN2at6native12_GLOBAL__N_122max_pool_backward_nhwcIddEEvPKT_PKlillliiiiiiiiiiiiiiiPS3_
	.p2align	8
	.type	_ZN2at6native12_GLOBAL__N_122max_pool_backward_nhwcIddEEvPKT_PKlillliiiiiiiiiiiiiiiPS3_,@function
_ZN2at6native12_GLOBAL__N_122max_pool_backward_nhwcIddEEvPKT_PKlillliiiiiiiiiiiiiiiPS3_: ; @_ZN2at6native12_GLOBAL__N_122max_pool_backward_nhwcIddEEvPKT_PKlillliiiiiiiiiiiiiiiPS3_
; %bb.0:
	s_clause 0x3
	s_load_b32 s33, s[0:1], 0x10
	s_load_b128 s[28:31], s[0:1], 0x7c
	s_load_b256 s[4:11], s[0:1], 0x50
	s_load_b256 s[16:23], s[0:1], 0x30
	v_bfe_u32 v3, v0, 10, 10
	v_bfe_u32 v2, v0, 20, 10
	v_and_b32_e32 v6, 0x3ff, v0
	s_waitcnt lgkmcnt(0)
	v_cvt_f32_u32_e32 v1, s33
	s_lshr_b32 s11, s30, 16
	s_and_b32 s35, s30, 0xffff
	v_mad_u32_u24 v9, v2, s11, v3
	s_sub_i32 s24, 0, s33
	v_rcp_iflag_f32_e32 v1, v1
	s_mul_i32 s2, s35, s10
	s_and_b32 s12, s31, 0xffff
	s_mul_i32 s2, s2, s11
	s_delay_alu instid0(SALU_CYCLE_1) | instskip(SKIP_2) | instid1(VALU_DEP_1)
	s_mul_i32 s2, s2, s12
	s_waitcnt_depctr 0xfff
	v_mul_f32_e32 v1, 0x4f7ffffe, v1
	v_cvt_u32_f32_e32 v4, v1
	v_mad_u64_u32 v[0:1], null, v9, s35, v[6:7]
	s_delay_alu instid0(VALU_DEP_2) | instskip(NEXT) | instid1(VALU_DEP_1)
	v_readfirstlane_b32 s3, v4
	s_mul_i32 s24, s24, s3
	s_delay_alu instid0(SALU_CYCLE_1) | instskip(NEXT) | instid1(SALU_CYCLE_1)
	s_mul_hi_u32 s24, s3, s24
	s_add_i32 s24, s3, s24
	s_mov_b32 s3, 0
	s_mul_hi_u32 s34, s13, s24
	s_mov_b32 s24, exec_lo
	v_cmpx_gt_u32_e64 s2, v0
	s_cbranch_execz .LBB16_3
; %bb.1:
	v_mov_b32_e32 v4, 0
	s_mul_i32 s25, s11, s35
	v_lshl_add_u32 v1, v0, 3, 0
	s_mul_i32 s25, s25, s12
	s_delay_alu instid0(SALU_CYCLE_1)
	s_lshl_b32 s26, s25, 3
	v_mov_b32_e32 v5, v4
.LBB16_2:                               ; =>This Inner Loop Header: Depth=1
	v_add_nc_u32_e32 v0, s25, v0
	ds_store_b64 v1, v[4:5]
	v_add_nc_u32_e32 v1, s26, v1
	v_cmp_le_u32_e32 vcc_lo, s2, v0
	s_or_b32 s3, vcc_lo, s3
	s_delay_alu instid0(SALU_CYCLE_1)
	s_and_not1_b32 exec_lo, exec_lo, s3
	s_cbranch_execnz .LBB16_2
.LBB16_3:
	s_or_b32 exec_lo, exec_lo, s24
	s_clause 0x1
	s_load_b128 s[24:27], s[0:1], 0x18
	s_load_b64 s[30:31], s[0:1], 0x28
	v_cvt_f32_ubyte0_e32 v0, 0
	s_mov_b32 s2, 0
	s_waitcnt lgkmcnt(0)
	s_barrier
	buffer_gl0_inv
	s_add_u32 s3, s26, s29
	s_addc_u32 s37, s27, 0
	s_add_u32 s36, s3, -1
	s_addc_u32 s3, s37, -1
	s_delay_alu instid0(SALU_CYCLE_1)
	s_cmp_lg_u64 s[2:3], 0
	s_cbranch_scc0 .LBB16_60
; %bb.4:
	v_cvt_f32_u32_e32 v1, s29
	s_sub_u32 s39, 0, s29
	s_subb_u32 s40, 0, 0
	s_delay_alu instid0(VALU_DEP_1) | instskip(NEXT) | instid1(VALU_DEP_1)
	v_fmamk_f32 v1, v0, 0x4f800000, v1
	v_rcp_f32_e32 v1, v1
	s_waitcnt_depctr 0xfff
	v_mul_f32_e32 v1, 0x5f7ffffc, v1
	s_delay_alu instid0(VALU_DEP_1) | instskip(NEXT) | instid1(VALU_DEP_1)
	v_mul_f32_e32 v4, 0x2f800000, v1
	v_trunc_f32_e32 v4, v4
	s_delay_alu instid0(VALU_DEP_1) | instskip(SKIP_1) | instid1(VALU_DEP_2)
	v_fmamk_f32 v1, v4, 0xcf800000, v1
	v_cvt_u32_f32_e32 v4, v4
	v_cvt_u32_f32_e32 v1, v1
	s_delay_alu instid0(VALU_DEP_2) | instskip(NEXT) | instid1(VALU_DEP_2)
	v_readfirstlane_b32 s37, v4
	v_readfirstlane_b32 s38, v1
	s_delay_alu instid0(VALU_DEP_2) | instskip(NEXT) | instid1(VALU_DEP_1)
	s_mul_i32 s41, s39, s37
	s_mul_hi_u32 s43, s39, s38
	s_mul_i32 s42, s40, s38
	s_add_i32 s41, s43, s41
	s_mul_i32 s44, s39, s38
	s_add_i32 s41, s41, s42
	s_mul_hi_u32 s43, s38, s44
	s_mul_hi_u32 s45, s37, s44
	s_mul_i32 s42, s37, s44
	s_mul_hi_u32 s44, s38, s41
	s_mul_i32 s38, s38, s41
	s_mul_hi_u32 s46, s37, s41
	s_add_u32 s38, s43, s38
	s_addc_u32 s43, 0, s44
	s_add_u32 s38, s38, s42
	s_mul_i32 s41, s37, s41
	s_addc_u32 s38, s43, s45
	s_addc_u32 s42, s46, 0
	s_add_u32 s38, s38, s41
	s_addc_u32 s41, 0, s42
	v_add_co_u32 v1, s38, v1, s38
	s_delay_alu instid0(VALU_DEP_1) | instskip(SKIP_1) | instid1(VALU_DEP_1)
	s_cmp_lg_u32 s38, 0
	s_addc_u32 s37, s37, s41
	v_readfirstlane_b32 s38, v1
	s_mul_i32 s41, s39, s37
	s_delay_alu instid0(VALU_DEP_1)
	s_mul_hi_u32 s42, s39, s38
	s_mul_i32 s40, s40, s38
	s_add_i32 s41, s42, s41
	s_mul_i32 s39, s39, s38
	s_add_i32 s41, s41, s40
	s_mul_hi_u32 s42, s37, s39
	s_mul_i32 s43, s37, s39
	s_mul_hi_u32 s39, s38, s39
	s_mul_hi_u32 s44, s38, s41
	s_mul_i32 s38, s38, s41
	s_mul_hi_u32 s40, s37, s41
	s_add_u32 s38, s39, s38
	s_addc_u32 s39, 0, s44
	s_add_u32 s38, s38, s43
	s_mul_i32 s41, s37, s41
	s_addc_u32 s38, s39, s42
	s_addc_u32 s39, s40, 0
	s_add_u32 s38, s38, s41
	s_addc_u32 s39, 0, s39
	v_add_co_u32 v1, s38, v1, s38
	s_delay_alu instid0(VALU_DEP_1) | instskip(SKIP_2) | instid1(SALU_CYCLE_1)
	s_cmp_lg_u32 s38, 0
	s_addc_u32 s37, s37, s39
	s_ashr_i32 s38, s3, 31
	s_add_u32 s40, s36, s38
	s_addc_u32 s41, s3, s38
	v_readfirstlane_b32 s3, v1
	s_mov_b32 s39, s38
	s_delay_alu instid0(SALU_CYCLE_1) | instskip(NEXT) | instid1(SALU_CYCLE_1)
	s_xor_b64 s[40:41], s[40:41], s[38:39]
	s_mul_i32 s42, s40, s37
	s_delay_alu instid0(VALU_DEP_1)
	s_mul_hi_u32 s43, s40, s3
	s_mul_hi_u32 s39, s40, s37
	;; [unrolled: 1-line block ×3, first 2 shown]
	s_mul_i32 s3, s41, s3
	s_add_u32 s42, s43, s42
	s_addc_u32 s39, 0, s39
	s_mul_hi_u32 s44, s41, s37
	s_add_u32 s3, s42, s3
	s_mul_i32 s37, s41, s37
	s_addc_u32 s3, s39, s45
	s_addc_u32 s39, s44, 0
	s_add_u32 s3, s3, s37
	s_addc_u32 s37, 0, s39
	s_mul_i32 s43, s29, s3
	s_mul_hi_u32 s42, s29, s3
	v_sub_co_u32 v1, s40, s40, s43
	s_mul_i32 s37, s29, s37
	s_add_u32 s39, s3, 1
	s_add_i32 s42, s42, s37
	s_delay_alu instid0(VALU_DEP_1) | instskip(SKIP_3) | instid1(VALU_DEP_2)
	v_sub_co_u32 v4, s37, v1, s29
	s_add_u32 s43, s3, 2
	s_cmp_lg_u32 s40, 0
	v_mov_b32_e32 v5, s43
	v_cmp_le_u32_e32 vcc_lo, s29, v4
	s_subb_u32 s40, s41, s42
	s_cmp_lg_u32 s37, 0
	s_subb_u32 s37, s40, 0
	v_cndmask_b32_e64 v4, 0, -1, vcc_lo
	v_cmp_le_u32_e32 vcc_lo, s29, v1
	s_cmp_eq_u32 s37, 0
	v_cndmask_b32_e64 v1, 0, -1, vcc_lo
	s_cselect_b32 vcc_lo, -1, 0
	s_cmp_eq_u32 s40, 0
	v_cndmask_b32_e32 v4, -1, v4, vcc_lo
	s_cselect_b32 vcc_lo, -1, 0
	v_cndmask_b32_e32 v1, -1, v1, vcc_lo
	s_delay_alu instid0(VALU_DEP_2) | instskip(SKIP_1) | instid1(VALU_DEP_3)
	v_cmp_ne_u32_e32 vcc_lo, 0, v4
	v_cndmask_b32_e32 v4, s39, v5, vcc_lo
	v_cmp_ne_u32_e32 vcc_lo, 0, v1
	s_delay_alu instid0(VALU_DEP_2) | instskip(NEXT) | instid1(VALU_DEP_1)
	v_cndmask_b32_e32 v1, s3, v4, vcc_lo
	v_xor_b32_e32 v1, s38, v1
	s_delay_alu instid0(VALU_DEP_1)
	v_sub_co_u32 v4, vcc_lo, v1, s38
	s_and_not1_b32 vcc_lo, exec_lo, s2
	s_cbranch_vccnz .LBB16_6
.LBB16_5:
	v_cvt_f32_u32_e32 v1, s29
	s_sub_i32 s3, 0, s29
	s_delay_alu instid0(VALU_DEP_1) | instskip(SKIP_2) | instid1(VALU_DEP_1)
	v_rcp_iflag_f32_e32 v1, v1
	s_waitcnt_depctr 0xfff
	v_mul_f32_e32 v1, 0x4f7ffffe, v1
	v_cvt_u32_f32_e32 v1, v1
	s_delay_alu instid0(VALU_DEP_1) | instskip(NEXT) | instid1(VALU_DEP_1)
	v_readfirstlane_b32 s2, v1
	s_mul_i32 s3, s3, s2
	s_delay_alu instid0(SALU_CYCLE_1) | instskip(NEXT) | instid1(SALU_CYCLE_1)
	s_mul_hi_u32 s3, s2, s3
	s_add_i32 s2, s2, s3
	s_delay_alu instid0(SALU_CYCLE_1) | instskip(NEXT) | instid1(SALU_CYCLE_1)
	s_mul_hi_u32 s2, s36, s2
	s_mul_i32 s3, s2, s29
	s_delay_alu instid0(SALU_CYCLE_1)
	s_sub_i32 s3, s36, s3
	s_add_i32 s36, s2, 1
	s_sub_i32 s37, s3, s29
	s_cmp_ge_u32 s3, s29
	s_cselect_b32 s2, s36, s2
	s_cselect_b32 s3, s37, s3
	s_add_i32 s36, s2, 1
	s_cmp_ge_u32 s3, s29
	s_mov_b32 s3, 0
	s_cselect_b32 s2, s36, s2
	s_delay_alu instid0(SALU_CYCLE_1)
	v_dual_mov_b32 v5, s3 :: v_dual_mov_b32 v4, s2
.LBB16_6:
	s_add_u32 s3, s30, s28
	s_addc_u32 s36, s31, 0
	s_add_u32 s29, s3, -1
	s_mov_b32 s2, 0
	s_addc_u32 s3, s36, -1
	s_delay_alu instid0(SALU_CYCLE_1)
	s_cmp_lg_u64 s[2:3], 0
	s_cbranch_scc0 .LBB16_61
; %bb.7:
	v_cvt_f32_u32_e32 v1, s28
	s_sub_u32 s38, 0, s28
	s_subb_u32 s39, 0, 0
	s_delay_alu instid0(VALU_DEP_1) | instskip(NEXT) | instid1(VALU_DEP_1)
	v_fmamk_f32 v0, v0, 0x4f800000, v1
	v_rcp_f32_e32 v0, v0
	s_waitcnt_depctr 0xfff
	v_mul_f32_e32 v0, 0x5f7ffffc, v0
	s_delay_alu instid0(VALU_DEP_1) | instskip(NEXT) | instid1(VALU_DEP_1)
	v_mul_f32_e32 v1, 0x2f800000, v0
	v_trunc_f32_e32 v1, v1
	s_delay_alu instid0(VALU_DEP_1) | instskip(SKIP_1) | instid1(VALU_DEP_2)
	v_fmamk_f32 v0, v1, 0xcf800000, v0
	v_cvt_u32_f32_e32 v1, v1
	v_cvt_u32_f32_e32 v0, v0
	s_delay_alu instid0(VALU_DEP_2) | instskip(NEXT) | instid1(VALU_DEP_2)
	v_readfirstlane_b32 s36, v1
	v_readfirstlane_b32 s37, v0
	s_delay_alu instid0(VALU_DEP_2) | instskip(NEXT) | instid1(VALU_DEP_1)
	s_mul_i32 s40, s38, s36
	s_mul_hi_u32 s42, s38, s37
	s_mul_i32 s41, s39, s37
	s_add_i32 s40, s42, s40
	s_mul_i32 s43, s38, s37
	s_add_i32 s40, s40, s41
	s_mul_hi_u32 s42, s37, s43
	s_mul_hi_u32 s44, s36, s43
	s_mul_i32 s41, s36, s43
	s_mul_hi_u32 s43, s37, s40
	s_mul_i32 s37, s37, s40
	s_mul_hi_u32 s45, s36, s40
	s_add_u32 s37, s42, s37
	s_addc_u32 s42, 0, s43
	s_add_u32 s37, s37, s41
	s_mul_i32 s40, s36, s40
	s_addc_u32 s37, s42, s44
	s_addc_u32 s41, s45, 0
	s_add_u32 s37, s37, s40
	s_addc_u32 s40, 0, s41
	v_add_co_u32 v0, s37, v0, s37
	s_delay_alu instid0(VALU_DEP_1) | instskip(SKIP_1) | instid1(VALU_DEP_1)
	s_cmp_lg_u32 s37, 0
	s_addc_u32 s36, s36, s40
	v_readfirstlane_b32 s37, v0
	s_mul_i32 s40, s38, s36
	s_delay_alu instid0(VALU_DEP_1)
	s_mul_hi_u32 s41, s38, s37
	s_mul_i32 s39, s39, s37
	s_add_i32 s40, s41, s40
	s_mul_i32 s38, s38, s37
	s_add_i32 s40, s40, s39
	s_mul_hi_u32 s41, s36, s38
	s_mul_i32 s42, s36, s38
	s_mul_hi_u32 s38, s37, s38
	s_mul_hi_u32 s43, s37, s40
	s_mul_i32 s37, s37, s40
	s_mul_hi_u32 s39, s36, s40
	s_add_u32 s37, s38, s37
	s_addc_u32 s38, 0, s43
	s_add_u32 s37, s37, s42
	s_mul_i32 s40, s36, s40
	s_addc_u32 s37, s38, s41
	s_addc_u32 s38, s39, 0
	s_add_u32 s37, s37, s40
	s_addc_u32 s38, 0, s38
	v_add_co_u32 v0, s37, v0, s37
	s_delay_alu instid0(VALU_DEP_1) | instskip(SKIP_2) | instid1(SALU_CYCLE_1)
	s_cmp_lg_u32 s37, 0
	s_addc_u32 s40, s36, s38
	s_ashr_i32 s36, s3, 31
	s_add_u32 s38, s29, s36
	s_addc_u32 s39, s3, s36
	v_readfirstlane_b32 s3, v0
	s_mov_b32 s37, s36
	s_delay_alu instid0(SALU_CYCLE_1) | instskip(NEXT) | instid1(SALU_CYCLE_1)
	s_xor_b64 s[38:39], s[38:39], s[36:37]
	s_mul_i32 s41, s38, s40
	s_delay_alu instid0(VALU_DEP_1)
	s_mul_hi_u32 s42, s38, s3
	s_mul_hi_u32 s37, s38, s40
	;; [unrolled: 1-line block ×3, first 2 shown]
	s_mul_i32 s3, s39, s3
	s_add_u32 s41, s42, s41
	s_addc_u32 s37, 0, s37
	s_mul_hi_u32 s43, s39, s40
	s_add_u32 s3, s41, s3
	s_mul_i32 s40, s39, s40
	s_addc_u32 s3, s37, s44
	s_addc_u32 s37, s43, 0
	s_add_u32 s3, s3, s40
	s_addc_u32 s37, 0, s37
	s_mul_i32 s42, s28, s3
	s_mul_hi_u32 s41, s28, s3
	v_sub_co_u32 v0, s38, s38, s42
	s_mul_i32 s37, s28, s37
	s_add_u32 s40, s3, 1
	s_add_i32 s41, s41, s37
	s_delay_alu instid0(VALU_DEP_1) | instskip(SKIP_3) | instid1(VALU_DEP_2)
	v_sub_co_u32 v1, s37, v0, s28
	s_add_u32 s42, s3, 2
	s_cmp_lg_u32 s38, 0
	v_mov_b32_e32 v5, s42
	v_cmp_le_u32_e32 vcc_lo, s28, v1
	s_subb_u32 s38, s39, s41
	s_cmp_lg_u32 s37, 0
	s_subb_u32 s37, s38, 0
	v_cndmask_b32_e64 v1, 0, -1, vcc_lo
	v_cmp_le_u32_e32 vcc_lo, s28, v0
	s_cmp_eq_u32 s37, 0
	v_cndmask_b32_e64 v0, 0, -1, vcc_lo
	s_cselect_b32 vcc_lo, -1, 0
	s_cmp_eq_u32 s38, 0
	v_cndmask_b32_e32 v1, -1, v1, vcc_lo
	s_cselect_b32 vcc_lo, -1, 0
	v_cndmask_b32_e32 v0, -1, v0, vcc_lo
	s_delay_alu instid0(VALU_DEP_2) | instskip(SKIP_1) | instid1(VALU_DEP_3)
	v_cmp_ne_u32_e32 vcc_lo, 0, v1
	v_cndmask_b32_e32 v1, s40, v5, vcc_lo
	v_cmp_ne_u32_e32 vcc_lo, 0, v0
	s_delay_alu instid0(VALU_DEP_2) | instskip(NEXT) | instid1(VALU_DEP_1)
	v_cndmask_b32_e32 v0, s3, v1, vcc_lo
	v_xor_b32_e32 v0, s36, v0
	s_delay_alu instid0(VALU_DEP_1)
	v_sub_co_u32 v7, vcc_lo, v0, s36
	s_and_not1_b32 vcc_lo, exec_lo, s2
	s_cbranch_vccnz .LBB16_9
.LBB16_8:
	v_cvt_f32_u32_e32 v0, s28
	s_sub_i32 s3, 0, s28
	s_delay_alu instid0(VALU_DEP_1) | instskip(SKIP_2) | instid1(VALU_DEP_1)
	v_rcp_iflag_f32_e32 v0, v0
	s_waitcnt_depctr 0xfff
	v_mul_f32_e32 v0, 0x4f7ffffe, v0
	v_cvt_u32_f32_e32 v0, v0
	s_delay_alu instid0(VALU_DEP_1) | instskip(NEXT) | instid1(VALU_DEP_1)
	v_readfirstlane_b32 s2, v0
	s_mul_i32 s3, s3, s2
	s_delay_alu instid0(SALU_CYCLE_1) | instskip(NEXT) | instid1(SALU_CYCLE_1)
	s_mul_hi_u32 s3, s2, s3
	s_add_i32 s2, s2, s3
	s_delay_alu instid0(SALU_CYCLE_1) | instskip(NEXT) | instid1(SALU_CYCLE_1)
	s_mul_hi_u32 s2, s29, s2
	s_mul_i32 s3, s2, s28
	s_delay_alu instid0(SALU_CYCLE_1)
	s_sub_i32 s3, s29, s3
	s_add_i32 s29, s2, 1
	s_sub_i32 s36, s3, s28
	s_cmp_ge_u32 s3, s28
	s_cselect_b32 s2, s29, s2
	s_cselect_b32 s3, s36, s3
	s_add_i32 s29, s2, 1
	s_cmp_ge_u32 s3, s28
	s_mov_b32 s3, 0
	s_cselect_b32 s2, s29, s2
	s_delay_alu instid0(SALU_CYCLE_1)
	v_dual_mov_b32 v8, s3 :: v_dual_mov_b32 v7, s2
.LBB16_9:
	v_mad_u64_u32 v[0:1], null, s15, v4, v[2:3]
	v_ashrrev_i32_e32 v2, 31, v4
	s_mov_b32 s2, exec_lo
	s_delay_alu instid0(VALU_DEP_2) | instskip(SKIP_1) | instid1(VALU_DEP_2)
	v_ashrrev_i32_e32 v5, 31, v0
	v_add_co_u32 v1, vcc_lo, v4, v0
	v_add_co_ci_u32_e32 v2, vcc_lo, v2, v5, vcc_lo
	s_delay_alu instid0(VALU_DEP_1) | instskip(SKIP_1) | instid1(VALU_DEP_1)
	v_cmp_gt_i64_e32 vcc_lo, s[26:27], v[1:2]
	v_cndmask_b32_e32 v29, s26, v1, vcc_lo
	v_cmpx_lt_i32_e64 v0, v29
	s_cbranch_execz .LBB16_59
; %bb.10:
	s_mul_i32 s2, s34, s33
	s_add_i32 s3, s34, 1
	s_sub_i32 s2, s13, s2
	s_load_b64 s[28:29], s[0:1], 0x70
	s_sub_i32 s15, s2, s33
	s_cmp_ge_u32 s2, s33
	s_mul_i32 s36, s26, s25
	s_cselect_b32 s3, s3, s34
	s_cselect_b32 s2, s15, s2
	s_add_i32 s15, s3, 1
	s_cmp_ge_u32 s2, s33
	s_mul_hi_u32 s2, s26, s24
	s_cselect_b32 s37, s15, s3
	s_mul_i32 s3, s27, s24
	s_mul_i32 s15, s37, s33
	;; [unrolled: 1-line block ×3, first 2 shown]
	s_add_i32 s2, s2, s36
	s_sub_i32 s15, s13, s15
	s_mul_i32 s27, s26, s31
	s_mul_hi_u32 s33, s26, s30
	s_add_i32 s2, s2, s3
	s_ashr_i32 s13, s15, 31
	s_add_i32 s3, s33, s27
	s_mul_i32 s2, s2, s30
	s_mul_i32 s26, s26, s30
	s_add_i32 s2, s3, s2
	s_mul_i32 s3, s26, s13
	s_mul_hi_u32 s13, s26, s15
	s_mul_i32 s27, s2, s15
	s_add_i32 s13, s13, s3
	s_load_b128 s[0:3], s[0:1], 0x0
	s_add_i32 s27, s13, s27
	s_mul_i32 s26, s26, s15
	s_mul_i32 s33, s17, s16
	s_lshl_b64 s[26:27], s[26:27], 3
	v_mad_u64_u32 v[1:2], null, s14, v7, v[3:4]
	s_waitcnt lgkmcnt(0)
	s_add_u32 s13, s28, s26
	s_mul_i32 s26, s33, s15
	s_addc_u32 s15, s29, s27
	s_mul_i32 s27, s26, s25
	s_mul_hi_u32 s28, s26, s24
	s_ashr_i32 s29, s26, 31
	s_add_i32 s27, s28, s27
	s_mul_i32 s29, s29, s24
	s_mul_i32 s26, s26, s24
	s_add_i32 s27, s27, s29
	v_ashrrev_i32_e32 v4, 31, v1
	s_lshl_b64 s[28:29], s[26:27], 3
	v_ashrrev_i32_e32 v5, 31, v7
	s_add_u32 s14, s2, s28
	s_addc_u32 s26, s3, s29
	s_add_u32 s27, s0, s28
	s_addc_u32 s28, s1, s29
	s_abs_i32 s29, s20
	s_abs_i32 s33, s21
	v_cvt_f32_u32_e32 v2, s29
	v_cvt_f32_u32_e32 v3, s33
	s_sub_i32 s0, 0, s29
	v_mul_lo_u32 v9, s10, v9
	s_sub_i32 s1, 0, s33
	v_rcp_iflag_f32_e32 v8, v2
	v_rcp_iflag_f32_e32 v10, v3
	v_add_co_u32 v2, vcc_lo, v7, v1
	v_add_co_ci_u32_e32 v3, vcc_lo, v5, v4, vcc_lo
	s_delay_alu instid0(VALU_DEP_3) | instskip(SKIP_2) | instid1(VALU_DEP_2)
	v_mul_lo_u32 v9, v9, s35
	s_add_i32 s18, s18, -1
	s_ashr_i32 s20, s20, 31
	v_cmp_gt_i64_e32 vcc_lo, s[30:31], v[2:3]
	s_waitcnt_depctr 0xfff
	v_dual_mul_f32 v4, 0x4f7ffffe, v8 :: v_dual_mul_f32 v5, 0x4f7ffffe, v10
	s_mul_i32 s18, s18, s4
	s_mov_b32 s34, 0
	s_not_b32 s31, s18
	s_delay_alu instid0(VALU_DEP_1) | instskip(SKIP_3) | instid1(VALU_DEP_4)
	v_cvt_u32_f32_e32 v4, v4
	v_cvt_u32_f32_e32 v5, v5
	v_cndmask_b32_e32 v30, s30, v2, vcc_lo
	v_mad_u64_u32 v[2:3], null, s37, s35, v[6:7]
	v_mul_lo_u32 v7, s0, v4
	s_delay_alu instid0(VALU_DEP_4) | instskip(SKIP_4) | instid1(VALU_DEP_3)
	v_mul_lo_u32 v8, s1, v5
	s_add_i32 s37, s37, s9
	s_add_i32 s0, s19, -1
	s_mul_i32 s19, s35, s9
	s_mul_i32 s5, s0, s5
	v_ashrrev_i32_e32 v3, 31, v2
	v_mul_lo_u32 v33, s6, v2
	v_mul_hi_u32 v7, v4, v7
	v_mul_hi_u32 v8, v5, v8
	s_mul_i32 s9, s9, s6
	v_cmp_gt_i64_e64 s0, s[24:25], v[2:3]
	s_not_b32 s10, s5
	s_ashr_i32 s6, s21, 31
	s_mul_i32 s9, s9, s35
	s_lshl_b32 s21, s35, 3
	v_add_nc_u32_e32 v31, v4, v7
	v_lshlrev_b32_e32 v7, 3, v9
	v_add_nc_u32_e32 v32, v5, v8
	v_lshlrev_b32_e32 v8, 3, v6
	v_cmp_lt_i32_e32 vcc_lo, v1, v30
                                        ; implicit-def: $vgpr9_vgpr10
                                        ; implicit-def: $vgpr11_vgpr12
                                        ; implicit-def: $vgpr13_vgpr14
	s_delay_alu instid0(VALU_DEP_4) | instskip(SKIP_1) | instid1(VALU_DEP_4)
	v_mad_u64_u32 v[4:5], null, s37, s35, v[6:7]
	v_mov_b32_e32 v5, 0
	v_add3_u32 v34, v7, v8, 0
                                        ; implicit-def: $vgpr7_vgpr8
	s_branch .LBB16_13
.LBB16_11:                              ;   in Loop: Header=BB16_13 Depth=1
	s_or_b32 exec_lo, exec_lo, s36
.LBB16_12:                              ;   in Loop: Header=BB16_13 Depth=1
	s_delay_alu instid0(SALU_CYCLE_1) | instskip(SKIP_1) | instid1(VALU_DEP_1)
	s_or_b32 exec_lo, exec_lo, s35
	v_add_nc_u32_e32 v0, s12, v0
	v_cmp_ge_i32_e64 s1, v0, v29
	s_delay_alu instid0(VALU_DEP_1) | instskip(NEXT) | instid1(SALU_CYCLE_1)
	s_or_b32 s34, s1, s34
	s_and_not1_b32 exec_lo, exec_lo, s34
	s_cbranch_execz .LBB16_59
.LBB16_13:                              ; =>This Loop Header: Depth=1
                                        ;     Child Loop BB16_19 Depth 2
                                        ;       Child Loop BB16_28 Depth 3
                                        ;         Child Loop BB16_31 Depth 4
                                        ;           Child Loop BB16_34 Depth 5
                                        ;       Child Loop BB16_40 Depth 3
                                        ;       Child Loop BB16_51 Depth 3
	;; [unrolled: 1-line block ×3, first 2 shown]
	s_delay_alu instid0(VALU_DEP_2) | instskip(SKIP_1) | instid1(VALU_DEP_1)
	v_dual_mov_b32 v35, v5 :: v_dual_add_nc_u32 v6, s22, v0
	s_mov_b32 s2, exec_lo
	v_cmpx_lt_i32_e64 s18, v6
	s_cbranch_execz .LBB16_15
; %bb.14:                               ;   in Loop: Header=BB16_13 Depth=1
	v_add_nc_u32_e32 v15, s31, v6
	s_delay_alu instid0(VALU_DEP_1) | instskip(NEXT) | instid1(VALU_DEP_1)
	v_sub_nc_u32_e32 v16, 0, v15
	v_max_i32_e32 v16, v15, v16
	v_ashrrev_i32_e32 v15, 31, v15
	s_delay_alu instid0(VALU_DEP_2) | instskip(NEXT) | instid1(VALU_DEP_2)
	v_mul_hi_u32 v17, v16, v31
	v_xor_b32_e32 v15, s20, v15
	s_delay_alu instid0(VALU_DEP_2) | instskip(NEXT) | instid1(VALU_DEP_1)
	v_mul_lo_u32 v18, v17, s29
	v_sub_nc_u32_e32 v16, v16, v18
	v_add_nc_u32_e32 v18, 1, v17
	s_delay_alu instid0(VALU_DEP_2) | instskip(SKIP_1) | instid1(VALU_DEP_1)
	v_subrev_nc_u32_e32 v19, s29, v16
	v_cmp_le_u32_e64 s1, s29, v16
	v_cndmask_b32_e64 v17, v17, v18, s1
	s_delay_alu instid0(VALU_DEP_3) | instskip(NEXT) | instid1(VALU_DEP_2)
	v_cndmask_b32_e64 v16, v16, v19, s1
	v_add_nc_u32_e32 v18, 1, v17
	s_delay_alu instid0(VALU_DEP_2) | instskip(NEXT) | instid1(VALU_DEP_1)
	v_cmp_le_u32_e64 s1, s29, v16
	v_cndmask_b32_e64 v16, v17, v18, s1
	s_delay_alu instid0(VALU_DEP_1) | instskip(NEXT) | instid1(VALU_DEP_1)
	v_xor_b32_e32 v16, v16, v15
	v_sub_nc_u32_e32 v15, v16, v15
	s_delay_alu instid0(VALU_DEP_1)
	v_add_nc_u32_e32 v35, 1, v15
.LBB16_15:                              ;   in Loop: Header=BB16_13 Depth=1
	s_or_b32 exec_lo, exec_lo, s2
	s_and_saveexec_b32 s35, vcc_lo
	s_cbranch_execz .LBB16_12
; %bb.16:                               ;   in Loop: Header=BB16_13 Depth=1
	v_sub_nc_u32_e32 v15, 0, v6
	v_add_nc_u32_e32 v20, 1, v35
	v_mul_lo_u32 v37, v0, s30
	s_mov_b32 s36, 0
	v_mov_b32_e32 v41, v1
	v_max_i32_e32 v15, v6, v15
	v_ashrrev_i32_e32 v6, 31, v6
	v_mul_lo_u32 v38, s7, v20
	s_delay_alu instid0(VALU_DEP_3) | instskip(NEXT) | instid1(VALU_DEP_3)
	v_mul_hi_u32 v16, v15, v31
	v_xor_b32_e32 v6, s20, v6
	s_delay_alu instid0(VALU_DEP_2) | instskip(NEXT) | instid1(VALU_DEP_1)
	v_mul_lo_u32 v17, v16, s29
	v_sub_nc_u32_e32 v15, v15, v17
	v_add_nc_u32_e32 v17, 1, v16
	s_delay_alu instid0(VALU_DEP_2) | instskip(SKIP_1) | instid1(VALU_DEP_1)
	v_subrev_nc_u32_e32 v18, s29, v15
	v_cmp_le_u32_e64 s1, s29, v15
	v_cndmask_b32_e64 v16, v16, v17, s1
	s_delay_alu instid0(VALU_DEP_3) | instskip(NEXT) | instid1(VALU_DEP_2)
	v_cndmask_b32_e64 v15, v15, v18, s1
	v_add_nc_u32_e32 v17, 1, v16
	s_delay_alu instid0(VALU_DEP_2) | instskip(NEXT) | instid1(VALU_DEP_1)
	v_cmp_le_u32_e64 s1, s29, v15
	v_cndmask_b32_e64 v15, v16, v17, s1
	s_delay_alu instid0(VALU_DEP_1) | instskip(SKIP_1) | instid1(VALU_DEP_2)
	v_xor_b32_e32 v16, v15, v6
	v_mul_lo_u32 v15, v35, s7
	v_sub_nc_u32_e32 v6, v16, v6
	s_delay_alu instid0(VALU_DEP_2) | instskip(NEXT) | instid1(VALU_DEP_2)
	v_ashrrev_i32_e32 v16, 31, v15
	v_add_nc_u32_e32 v6, 1, v6
	v_add_nc_u32_e32 v18, s7, v15
	s_delay_alu instid0(VALU_DEP_3) | instskip(NEXT) | instid1(VALU_DEP_3)
	v_lshlrev_b64 v[16:17], 3, v[15:16]
	v_min_i32_e32 v36, s16, v6
	s_delay_alu instid0(VALU_DEP_3) | instskip(NEXT) | instid1(VALU_DEP_3)
	v_ashrrev_i32_e32 v19, 31, v18
	v_add_co_u32 v39, s1, s14, v16
	s_delay_alu instid0(VALU_DEP_3) | instskip(SKIP_3) | instid1(VALU_DEP_4)
	v_sub_nc_u32_e32 v6, v36, v35
	v_cmp_eq_u32_e64 s3, v20, v36
	v_add_co_ci_u32_e64 v40, s1, s26, v17, s1
	v_lshlrev_b64 v[18:19], 3, v[18:19]
	v_cmp_gt_i32_e64 s4, 3, v6
	v_cmp_gt_i32_e64 s1, v36, v35
	v_cmp_lt_i32_e64 s2, v20, v36
	s_xor_b32 s37, s3, -1
	s_delay_alu instid0(VALU_DEP_3)
	s_xor_b32 s38, s4, -1
	s_branch .LBB16_19
.LBB16_17:                              ;   in Loop: Header=BB16_19 Depth=2
	s_set_inst_prefetch_distance 0x2
	s_or_b32 exec_lo, exec_lo, s39
.LBB16_18:                              ;   in Loop: Header=BB16_19 Depth=2
	s_delay_alu instid0(SALU_CYCLE_1) | instskip(SKIP_1) | instid1(VALU_DEP_1)
	s_or_b32 exec_lo, exec_lo, s4
	v_add_nc_u32_e32 v41, s11, v41
	v_cmp_ge_i32_e64 s3, v41, v30
	s_delay_alu instid0(VALU_DEP_1) | instskip(NEXT) | instid1(SALU_CYCLE_1)
	s_or_b32 s36, s3, s36
	s_and_not1_b32 exec_lo, exec_lo, s36
	s_cbranch_execz .LBB16_11
.LBB16_19:                              ;   Parent Loop BB16_13 Depth=1
                                        ; =>  This Loop Header: Depth=2
                                        ;       Child Loop BB16_28 Depth 3
                                        ;         Child Loop BB16_31 Depth 4
                                        ;           Child Loop BB16_34 Depth 5
                                        ;       Child Loop BB16_40 Depth 3
                                        ;       Child Loop BB16_51 Depth 3
	;; [unrolled: 1-line block ×3, first 2 shown]
	v_add_nc_u32_e32 v20, s23, v41
	v_mov_b32_e32 v6, 0
	s_mov_b32 s4, exec_lo
	s_delay_alu instid0(VALU_DEP_2)
	v_cmpx_lt_i32_e64 s5, v20
	s_cbranch_execz .LBB16_21
; %bb.20:                               ;   in Loop: Header=BB16_19 Depth=2
	v_add_nc_u32_e32 v6, s10, v20
	s_delay_alu instid0(VALU_DEP_1) | instskip(NEXT) | instid1(VALU_DEP_1)
	v_sub_nc_u32_e32 v21, 0, v6
	v_max_i32_e32 v21, v6, v21
	v_ashrrev_i32_e32 v6, 31, v6
	s_delay_alu instid0(VALU_DEP_2) | instskip(NEXT) | instid1(VALU_DEP_2)
	v_mul_hi_u32 v22, v21, v32
	v_xor_b32_e32 v6, s6, v6
	s_delay_alu instid0(VALU_DEP_2) | instskip(NEXT) | instid1(VALU_DEP_1)
	v_mul_lo_u32 v23, v22, s33
	v_sub_nc_u32_e32 v21, v21, v23
	v_add_nc_u32_e32 v23, 1, v22
	s_delay_alu instid0(VALU_DEP_2) | instskip(SKIP_1) | instid1(VALU_DEP_1)
	v_subrev_nc_u32_e32 v24, s33, v21
	v_cmp_le_u32_e64 s3, s33, v21
	v_cndmask_b32_e64 v22, v22, v23, s3
	s_delay_alu instid0(VALU_DEP_3) | instskip(NEXT) | instid1(VALU_DEP_2)
	v_cndmask_b32_e64 v21, v21, v24, s3
	v_add_nc_u32_e32 v23, 1, v22
	s_delay_alu instid0(VALU_DEP_2) | instskip(NEXT) | instid1(VALU_DEP_1)
	v_cmp_le_u32_e64 s3, s33, v21
	v_cndmask_b32_e64 v21, v22, v23, s3
	s_delay_alu instid0(VALU_DEP_1) | instskip(NEXT) | instid1(VALU_DEP_1)
	v_xor_b32_e32 v21, v21, v6
	v_sub_nc_u32_e32 v6, v21, v6
	s_delay_alu instid0(VALU_DEP_1)
	v_add_nc_u32_e32 v6, 1, v6
.LBB16_21:                              ;   in Loop: Header=BB16_19 Depth=2
	s_or_b32 exec_lo, exec_lo, s4
	v_sub_nc_u32_e32 v21, 0, v20
	s_delay_alu instid0(VALU_DEP_1) | instskip(SKIP_1) | instid1(VALU_DEP_2)
	v_max_i32_e32 v21, v20, v21
	v_ashrrev_i32_e32 v20, 31, v20
	v_mul_hi_u32 v22, v21, v32
	s_delay_alu instid0(VALU_DEP_2) | instskip(NEXT) | instid1(VALU_DEP_2)
	v_xor_b32_e32 v20, s6, v20
	v_mul_lo_u32 v23, v22, s33
	s_delay_alu instid0(VALU_DEP_1) | instskip(SKIP_1) | instid1(VALU_DEP_2)
	v_sub_nc_u32_e32 v21, v21, v23
	v_add_nc_u32_e32 v23, 1, v22
	v_subrev_nc_u32_e32 v24, s33, v21
	v_cmp_le_u32_e64 s3, s33, v21
	s_delay_alu instid0(VALU_DEP_1) | instskip(NEXT) | instid1(VALU_DEP_3)
	v_cndmask_b32_e64 v22, v22, v23, s3
	v_cndmask_b32_e64 v21, v21, v24, s3
	s_delay_alu instid0(VALU_DEP_2) | instskip(NEXT) | instid1(VALU_DEP_2)
	v_add_nc_u32_e32 v23, 1, v22
	v_cmp_le_u32_e64 s3, s33, v21
	s_delay_alu instid0(VALU_DEP_1) | instskip(NEXT) | instid1(VALU_DEP_1)
	v_cndmask_b32_e64 v21, v22, v23, s3
	v_xor_b32_e32 v21, v21, v20
	s_delay_alu instid0(VALU_DEP_1) | instskip(SKIP_1) | instid1(VALU_DEP_2)
	v_sub_nc_u32_e32 v20, v21, v20
	v_add_nc_u32_e32 v21, 1, v6
	v_add_nc_u32_e32 v20, 1, v20
	s_delay_alu instid0(VALU_DEP_1) | instskip(SKIP_1) | instid1(VALU_DEP_2)
	v_min_i32_e32 v27, s17, v20
	v_add_nc_u32_e32 v20, v41, v37
	v_cmp_ne_u32_e64 s3, v21, v27
	s_delay_alu instid0(VALU_DEP_1) | instskip(NEXT) | instid1(SALU_CYCLE_1)
	s_or_b32 s3, s37, s3
	s_and_saveexec_b32 s4, s3
	s_delay_alu instid0(SALU_CYCLE_1)
	s_xor_b32 s39, exec_lo, s4
	s_cbranch_execz .LBB16_53
; %bb.22:                               ;   in Loop: Header=BB16_19 Depth=2
	v_sub_nc_u32_e32 v22, v27, v6
	s_delay_alu instid0(VALU_DEP_1) | instskip(NEXT) | instid1(VALU_DEP_1)
	v_cmp_lt_i32_e64 s3, 2, v22
	s_or_b32 s3, s38, s3
	s_delay_alu instid0(SALU_CYCLE_1) | instskip(NEXT) | instid1(SALU_CYCLE_1)
	s_and_saveexec_b32 s4, s3
	s_xor_b32 s40, exec_lo, s4
	s_cbranch_execnz .LBB16_25
; %bb.23:                               ;   in Loop: Header=BB16_19 Depth=2
	s_and_not1_saveexec_b32 s40, s40
	s_cbranch_execnz .LBB16_37
.LBB16_24:                              ;   in Loop: Header=BB16_19 Depth=2
	s_or_b32 exec_lo, exec_lo, s40
	s_and_saveexec_b32 s40, s0
	s_cbranch_execnz .LBB16_50
	s_branch .LBB16_52
.LBB16_25:                              ;   in Loop: Header=BB16_19 Depth=2
	s_and_saveexec_b32 s41, s1
	s_cbranch_execz .LBB16_36
; %bb.26:                               ;   in Loop: Header=BB16_19 Depth=2
	v_mad_u64_u32 v[22:23], null, s8, v6, v[15:16]
	v_cmp_gt_i32_e64 s3, v27, v6
	v_ashrrev_i32_e32 v21, 31, v20
	v_mov_b32_e32 v28, v35
	s_mov_b32 s42, 0
	s_branch .LBB16_28
.LBB16_27:                              ;   in Loop: Header=BB16_28 Depth=3
	s_or_b32 exec_lo, exec_lo, s43
	v_add_nc_u32_e32 v28, 1, v28
	v_add_nc_u32_e32 v22, s7, v22
	s_delay_alu instid0(VALU_DEP_2) | instskip(NEXT) | instid1(VALU_DEP_1)
	v_cmp_ge_i32_e64 s4, v28, v36
	s_or_b32 s42, s4, s42
	s_delay_alu instid0(SALU_CYCLE_1)
	s_and_not1_b32 exec_lo, exec_lo, s42
	s_cbranch_execz .LBB16_36
.LBB16_28:                              ;   Parent Loop BB16_13 Depth=1
                                        ;     Parent Loop BB16_19 Depth=2
                                        ; =>    This Loop Header: Depth=3
                                        ;         Child Loop BB16_31 Depth 4
                                        ;           Child Loop BB16_34 Depth 5
	s_and_saveexec_b32 s43, s3
	s_cbranch_execz .LBB16_27
; %bb.29:                               ;   in Loop: Header=BB16_28 Depth=3
	v_mul_lo_u32 v23, v28, s7
	v_mov_b32_e32 v42, v22
	v_mov_b32_e32 v45, v6
	s_mov_b32 s44, 0
	s_delay_alu instid0(VALU_DEP_3) | instskip(NEXT) | instid1(VALU_DEP_1)
	v_ashrrev_i32_e32 v24, 31, v23
	v_lshlrev_b64 v[23:24], 3, v[23:24]
	s_delay_alu instid0(VALU_DEP_1) | instskip(NEXT) | instid1(VALU_DEP_1)
	v_add_co_u32 v43, s4, s14, v23
	v_add_co_ci_u32_e64 v44, s4, s26, v24, s4
	s_branch .LBB16_31
.LBB16_30:                              ;   in Loop: Header=BB16_31 Depth=4
	s_set_inst_prefetch_distance 0x2
	s_or_b32 exec_lo, exec_lo, s45
	v_add_nc_u32_e32 v45, 1, v45
	v_add_nc_u32_e32 v42, s8, v42
	s_delay_alu instid0(VALU_DEP_2) | instskip(NEXT) | instid1(VALU_DEP_1)
	v_cmp_ge_i32_e64 s4, v45, v27
	s_or_b32 s44, s4, s44
	s_delay_alu instid0(SALU_CYCLE_1)
	s_and_not1_b32 exec_lo, exec_lo, s44
	s_cbranch_execz .LBB16_27
.LBB16_31:                              ;   Parent Loop BB16_13 Depth=1
                                        ;     Parent Loop BB16_19 Depth=2
                                        ;       Parent Loop BB16_28 Depth=3
                                        ; =>      This Loop Header: Depth=4
                                        ;           Child Loop BB16_34 Depth 5
	s_and_saveexec_b32 s45, s0
	s_cbranch_execz .LBB16_30
; %bb.32:                               ;   in Loop: Header=BB16_31 Depth=4
	v_mul_lo_u32 v23, v45, s8
	v_mov_b32_e32 v46, v34
	s_mov_b32 s46, 0
	s_delay_alu instid0(VALU_DEP_2) | instskip(NEXT) | instid1(VALU_DEP_1)
	v_ashrrev_i32_e32 v24, 31, v23
	v_lshlrev_b64 v[24:25], 3, v[23:24]
	v_mov_b32_e32 v23, v4
	s_delay_alu instid0(VALU_DEP_2) | instskip(NEXT) | instid1(VALU_DEP_1)
	v_add_co_u32 v47, s4, v43, v24
	v_add_co_ci_u32_e64 v48, s4, v44, v25, s4
	v_mov_b32_e32 v25, v33
	s_set_inst_prefetch_distance 0x1
	s_branch .LBB16_34
	.p2align	6
.LBB16_33:                              ;   in Loop: Header=BB16_34 Depth=5
	s_or_b32 exec_lo, exec_lo, s47
	v_ashrrev_i32_e32 v24, 31, v23
	v_add_nc_u32_e32 v25, s9, v25
	v_add_nc_u32_e32 v46, s21, v46
	s_delay_alu instid0(VALU_DEP_3) | instskip(SKIP_1) | instid1(VALU_DEP_2)
	v_cmp_le_i64_e64 s4, s[24:25], v[23:24]
	v_add_nc_u32_e32 v23, s19, v23
	s_or_b32 s46, s4, s46
	s_delay_alu instid0(SALU_CYCLE_1)
	s_and_not1_b32 exec_lo, exec_lo, s46
	s_cbranch_execz .LBB16_30
.LBB16_34:                              ;   Parent Loop BB16_13 Depth=1
                                        ;     Parent Loop BB16_19 Depth=2
                                        ;       Parent Loop BB16_28 Depth=3
                                        ;         Parent Loop BB16_31 Depth=4
                                        ; =>        This Inner Loop Header: Depth=5
	s_delay_alu instid0(VALU_DEP_1) | instskip(SKIP_1) | instid1(VALU_DEP_1)
	v_ashrrev_i32_e32 v26, 31, v25
	s_mov_b32 s47, exec_lo
	v_lshlrev_b64 v[49:50], 3, v[25:26]
	s_delay_alu instid0(VALU_DEP_1) | instskip(NEXT) | instid1(VALU_DEP_1)
	v_add_co_u32 v49, s4, v47, v49
	v_add_co_ci_u32_e64 v50, s4, v48, v50, s4
	global_load_b64 v[49:50], v[49:50], off
	s_waitcnt vmcnt(0)
	v_cmpx_eq_u64_e64 v[49:50], v[20:21]
	s_cbranch_execz .LBB16_33
; %bb.35:                               ;   in Loop: Header=BB16_34 Depth=5
	v_add_nc_u32_e32 v49, v42, v25
	ds_load_b64 v[51:52], v46
	v_ashrrev_i32_e32 v50, 31, v49
	s_delay_alu instid0(VALU_DEP_1) | instskip(NEXT) | instid1(VALU_DEP_1)
	v_lshlrev_b64 v[49:50], 3, v[49:50]
	v_add_co_u32 v49, s4, s27, v49
	s_delay_alu instid0(VALU_DEP_1)
	v_add_co_ci_u32_e64 v50, s4, s28, v50, s4
	global_load_b64 v[49:50], v[49:50], off
	s_waitcnt vmcnt(0) lgkmcnt(0)
	v_add_f64 v[49:50], v[49:50], v[51:52]
	ds_store_b64 v46, v[49:50]
	s_branch .LBB16_33
.LBB16_36:                              ;   in Loop: Header=BB16_19 Depth=2
	s_or_b32 exec_lo, exec_lo, s41
                                        ; implicit-def: $vgpr27
                                        ; implicit-def: $vgpr6
                                        ; implicit-def: $vgpr21
	s_and_not1_saveexec_b32 s40, s40
	s_cbranch_execz .LBB16_24
.LBB16_37:                              ;   in Loop: Header=BB16_19 Depth=2
	s_and_saveexec_b32 s41, s0
	s_cbranch_execz .LBB16_49
; %bb.38:                               ;   in Loop: Header=BB16_19 Depth=2
	v_mul_lo_u32 v22, v6, s8
	v_cmp_gt_i32_e64 s3, v27, v6
	v_cmp_lt_i32_e64 s4, v21, v27
	v_not_b32_e32 v6, v20
	v_dual_mov_b32 v42, v34 :: v_dual_mov_b32 v27, v33
	s_delay_alu instid0(VALU_DEP_4) | instskip(NEXT) | instid1(VALU_DEP_3)
	s_and_b32 s42, s1, s3
	s_and_b32 s43, s1, s4
	v_add_nc_u32_e32 v24, s8, v22
	v_ashrrev_i32_e32 v23, 31, v22
	v_add_nc_u32_e32 v43, v38, v22
	v_add_nc_u32_e32 v44, v15, v22
	s_and_b32 s44, s2, s3
	v_ashrrev_i32_e32 v25, 31, v24
	v_add_nc_u32_e32 v45, v38, v24
	v_add_nc_u32_e32 v46, v15, v24
	v_lshlrev_b64 v[21:22], 3, v[22:23]
	s_and_b32 s45, s2, s4
	v_lshlrev_b64 v[23:24], 3, v[24:25]
	v_mov_b32_e32 v25, v4
	s_mov_b32 s4, 0
	s_branch .LBB16_40
.LBB16_39:                              ;   in Loop: Header=BB16_40 Depth=3
	s_or_b32 exec_lo, exec_lo, s46
	s_waitcnt vmcnt(0)
	v_add_f64 v[48:49], v[13:14], 0
	v_cmp_eq_u32_e64 s3, v26, v20
	ds_load_b64 v[53:54], v42
	v_ashrrev_i32_e32 v26, 31, v25
	v_add_nc_u32_e32 v27, s9, v27
	v_cndmask_b32_e64 v49, 0, v49, s3
	v_cndmask_b32_e64 v48, 0, v48, s3
	v_cmp_eq_u32_e64 s3, v28, v20
	s_delay_alu instid0(VALU_DEP_2) | instskip(NEXT) | instid1(VALU_DEP_1)
	v_add_f64 v[51:52], v[48:49], v[11:12]
	v_cndmask_b32_e64 v49, v49, v52, s3
	s_delay_alu instid0(VALU_DEP_2) | instskip(SKIP_1) | instid1(VALU_DEP_2)
	v_cndmask_b32_e64 v48, v48, v51, s3
	v_cmp_eq_u32_e64 s3, v47, v20
	v_add_f64 v[51:52], v[48:49], v[9:10]
	s_delay_alu instid0(VALU_DEP_1) | instskip(NEXT) | instid1(VALU_DEP_2)
	v_cndmask_b32_e64 v49, v49, v52, s3
	v_cndmask_b32_e64 v48, v48, v51, s3
	v_cmp_eq_u32_e64 s3, v50, v20
	s_delay_alu instid0(VALU_DEP_2) | instskip(NEXT) | instid1(VALU_DEP_1)
	v_add_f64 v[51:52], v[48:49], v[7:8]
	v_cndmask_b32_e64 v49, v49, v52, s3
	s_delay_alu instid0(VALU_DEP_2) | instskip(SKIP_3) | instid1(VALU_DEP_3)
	v_cndmask_b32_e64 v48, v48, v51, s3
	v_cmp_le_i64_e64 s3, s[24:25], v[25:26]
	v_add_nc_u32_e32 v25, s19, v25
	s_waitcnt lgkmcnt(0)
	v_add_f64 v[47:48], v[48:49], v[53:54]
	s_delay_alu instid0(VALU_DEP_3)
	s_or_b32 s4, s3, s4
	ds_store_b64 v42, v[47:48]
	v_add_nc_u32_e32 v42, s21, v42
	s_and_not1_b32 exec_lo, exec_lo, s4
	s_cbranch_execz .LBB16_48
.LBB16_40:                              ;   Parent Loop BB16_13 Depth=1
                                        ;     Parent Loop BB16_19 Depth=2
                                        ; =>    This Inner Loop Header: Depth=3
	v_ashrrev_i32_e32 v28, 31, v27
	v_mov_b32_e32 v26, v6
	s_delay_alu instid0(VALU_DEP_2) | instskip(NEXT) | instid1(VALU_DEP_1)
	v_lshlrev_b64 v[47:48], 3, v[27:28]
	v_add_co_u32 v47, s3, s14, v47
	s_delay_alu instid0(VALU_DEP_1) | instskip(NEXT) | instid1(VALU_DEP_2)
	v_add_co_ci_u32_e64 v48, s3, s26, v48, s3
	v_add_co_u32 v49, s3, v47, v16
	s_delay_alu instid0(VALU_DEP_1)
	v_add_co_ci_u32_e64 v50, s3, v48, v17, s3
	s_and_saveexec_b32 s46, s42
	s_cbranch_execz .LBB16_42
; %bb.41:                               ;   in Loop: Header=BB16_40 Depth=3
	v_add_nc_u32_e32 v13, v44, v27
	v_add_co_u32 v51, s3, v49, v21
	s_delay_alu instid0(VALU_DEP_1) | instskip(NEXT) | instid1(VALU_DEP_3)
	v_add_co_ci_u32_e64 v52, s3, v50, v22, s3
	v_ashrrev_i32_e32 v14, 31, v13
	s_delay_alu instid0(VALU_DEP_1) | instskip(NEXT) | instid1(VALU_DEP_1)
	v_lshlrev_b64 v[13:14], 3, v[13:14]
	v_add_co_u32 v13, s3, s27, v13
	s_delay_alu instid0(VALU_DEP_1)
	v_add_co_ci_u32_e64 v14, s3, s28, v14, s3
	global_load_b32 v26, v[51:52], off
	global_load_b64 v[13:14], v[13:14], off
.LBB16_42:                              ;   in Loop: Header=BB16_40 Depth=3
	s_or_b32 exec_lo, exec_lo, s46
	v_mov_b32_e32 v28, v6
	s_and_saveexec_b32 s46, s43
	s_cbranch_execz .LBB16_44
; %bb.43:                               ;   in Loop: Header=BB16_40 Depth=3
	v_add_nc_u32_e32 v11, v46, v27
	v_add_co_u32 v49, s3, v49, v23
	s_delay_alu instid0(VALU_DEP_1) | instskip(NEXT) | instid1(VALU_DEP_3)
	v_add_co_ci_u32_e64 v50, s3, v50, v24, s3
	v_ashrrev_i32_e32 v12, 31, v11
	s_delay_alu instid0(VALU_DEP_1) | instskip(NEXT) | instid1(VALU_DEP_1)
	v_lshlrev_b64 v[11:12], 3, v[11:12]
	v_add_co_u32 v11, s3, s27, v11
	s_delay_alu instid0(VALU_DEP_1)
	v_add_co_ci_u32_e64 v12, s3, s28, v12, s3
	global_load_b32 v28, v[49:50], off
	global_load_b64 v[11:12], v[11:12], off
.LBB16_44:                              ;   in Loop: Header=BB16_40 Depth=3
	s_or_b32 exec_lo, exec_lo, s46
	v_add_co_u32 v49, s3, v47, v18
	s_delay_alu instid0(VALU_DEP_1)
	v_add_co_ci_u32_e64 v48, s3, v48, v19, s3
	v_mov_b32_e32 v47, v6
	s_and_saveexec_b32 s46, s44
	s_cbranch_execz .LBB16_46
; %bb.45:                               ;   in Loop: Header=BB16_40 Depth=3
	v_add_nc_u32_e32 v9, v43, v27
	v_add_co_u32 v50, s3, v49, v21
	s_delay_alu instid0(VALU_DEP_1) | instskip(NEXT) | instid1(VALU_DEP_3)
	v_add_co_ci_u32_e64 v51, s3, v48, v22, s3
	v_ashrrev_i32_e32 v10, 31, v9
	s_delay_alu instid0(VALU_DEP_1) | instskip(NEXT) | instid1(VALU_DEP_1)
	v_lshlrev_b64 v[9:10], 3, v[9:10]
	v_add_co_u32 v9, s3, s27, v9
	s_delay_alu instid0(VALU_DEP_1)
	v_add_co_ci_u32_e64 v10, s3, s28, v10, s3
	global_load_b32 v47, v[50:51], off
	global_load_b64 v[9:10], v[9:10], off
.LBB16_46:                              ;   in Loop: Header=BB16_40 Depth=3
	s_or_b32 exec_lo, exec_lo, s46
	v_mov_b32_e32 v50, v6
	s_and_saveexec_b32 s46, s45
	s_cbranch_execz .LBB16_39
; %bb.47:                               ;   in Loop: Header=BB16_40 Depth=3
	v_add_nc_u32_e32 v7, v45, v27
	v_add_co_u32 v49, s3, v49, v23
	s_delay_alu instid0(VALU_DEP_1) | instskip(NEXT) | instid1(VALU_DEP_3)
	v_add_co_ci_u32_e64 v50, s3, v48, v24, s3
	v_ashrrev_i32_e32 v8, 31, v7
	s_delay_alu instid0(VALU_DEP_1) | instskip(NEXT) | instid1(VALU_DEP_1)
	v_lshlrev_b64 v[7:8], 3, v[7:8]
	v_add_co_u32 v7, s3, s27, v7
	s_delay_alu instid0(VALU_DEP_1)
	v_add_co_ci_u32_e64 v8, s3, s28, v8, s3
	global_load_b32 v50, v[49:50], off
	global_load_b64 v[7:8], v[7:8], off
	s_branch .LBB16_39
.LBB16_48:                              ;   in Loop: Header=BB16_19 Depth=2
	s_or_b32 exec_lo, exec_lo, s4
.LBB16_49:                              ;   in Loop: Header=BB16_19 Depth=2
	s_delay_alu instid0(SALU_CYCLE_1) | instskip(NEXT) | instid1(SALU_CYCLE_1)
	s_or_b32 exec_lo, exec_lo, s41
	s_or_b32 exec_lo, exec_lo, s40
	s_and_saveexec_b32 s40, s0
	s_cbranch_execz .LBB16_52
.LBB16_50:                              ;   in Loop: Header=BB16_19 Depth=2
	v_ashrrev_i32_e32 v6, 31, v20
	v_mul_lo_u32 v23, v20, s25
	v_mad_u64_u32 v[21:22], null, v20, s24, 0
	v_mov_b32_e32 v24, v34
	s_delay_alu instid0(VALU_DEP_4) | instskip(SKIP_2) | instid1(VALU_DEP_2)
	v_mul_lo_u32 v6, v6, s24
	v_mov_b32_e32 v20, v4
	s_mov_b32 s41, 0
	v_add3_u32 v22, v22, v23, v6
	s_delay_alu instid0(VALU_DEP_1) | instskip(NEXT) | instid1(VALU_DEP_1)
	v_lshlrev_b64 v[21:22], 3, v[21:22]
	v_add_co_u32 v25, s3, s13, v21
	s_delay_alu instid0(VALU_DEP_1)
	v_add_co_ci_u32_e64 v26, s3, s15, v22, s3
	v_dual_mov_b32 v23, v3 :: v_dual_mov_b32 v22, v2
	.p2align	6
.LBB16_51:                              ;   Parent Loop BB16_13 Depth=1
                                        ;     Parent Loop BB16_19 Depth=2
                                        ; =>    This Inner Loop Header: Depth=3
	ds_load_b64 v[27:28], v24
	v_ashrrev_i32_e32 v21, 31, v20
	v_lshlrev_b64 v[42:43], 3, v[22:23]
	v_mov_b32_e32 v6, v5
	s_delay_alu instid0(VALU_DEP_3) | instskip(SKIP_1) | instid1(VALU_DEP_4)
	v_cmp_le_i64_e64 s3, s[24:25], v[20:21]
	v_dual_mov_b32 v23, v21 :: v_dual_mov_b32 v22, v20
	v_add_co_u32 v42, s4, v25, v42
	ds_store_b64 v24, v[5:6]
	v_add_nc_u32_e32 v20, s19, v20
	v_add_co_ci_u32_e64 v43, s4, v26, v43, s4
	v_add_nc_u32_e32 v24, s21, v24
	s_or_b32 s41, s3, s41
	s_waitcnt lgkmcnt(1)
	global_store_b64 v[42:43], v[27:28], off
	s_and_not1_b32 exec_lo, exec_lo, s41
	s_cbranch_execnz .LBB16_51
.LBB16_52:                              ;   in Loop: Header=BB16_19 Depth=2
	s_or_b32 exec_lo, exec_lo, s40
                                        ; implicit-def: $vgpr6
                                        ; implicit-def: $vgpr20
.LBB16_53:                              ;   in Loop: Header=BB16_19 Depth=2
	s_and_not1_saveexec_b32 s4, s39
	s_cbranch_execz .LBB16_18
; %bb.54:                               ;   in Loop: Header=BB16_19 Depth=2
	s_and_saveexec_b32 s39, s0
	s_cbranch_execz .LBB16_17
; %bb.55:                               ;   in Loop: Header=BB16_19 Depth=2
	v_ashrrev_i32_e32 v21, 31, v20
	v_mul_lo_u32 v23, v6, s8
	v_mul_lo_u32 v6, v20, s25
	v_mad_u64_u32 v[25:26], null, v20, s24, 0
	s_delay_alu instid0(VALU_DEP_4) | instskip(SKIP_1) | instid1(VALU_DEP_4)
	v_mul_lo_u32 v22, v21, s24
	s_mov_b32 s40, 0
	v_ashrrev_i32_e32 v24, 31, v23
	s_delay_alu instid0(VALU_DEP_2) | instskip(NEXT) | instid1(VALU_DEP_2)
	v_add3_u32 v26, v26, v6, v22
	v_lshlrev_b64 v[42:43], 3, v[23:24]
	v_mov_b32_e32 v22, v4
	v_mov_b32_e32 v24, v33
	v_add_nc_u32_e32 v6, v23, v15
	v_lshlrev_b64 v[25:26], 3, v[25:26]
	v_add_co_u32 v28, s3, v39, v42
	s_delay_alu instid0(VALU_DEP_1) | instskip(NEXT) | instid1(VALU_DEP_3)
	v_add_co_ci_u32_e64 v42, s3, v40, v43, s3
	v_add_co_u32 v43, s3, s13, v25
	s_delay_alu instid0(VALU_DEP_1)
	v_add_co_ci_u32_e64 v44, s3, s15, v26, s3
	v_dual_mov_b32 v27, v3 :: v_dual_mov_b32 v26, v2
	s_set_inst_prefetch_distance 0x1
	s_branch .LBB16_57
	.p2align	6
.LBB16_56:                              ;   in Loop: Header=BB16_57 Depth=3
	s_or_b32 exec_lo, exec_lo, s41
	v_ashrrev_i32_e32 v23, 31, v22
	v_add_nc_u32_e32 v24, s9, v24
	s_delay_alu instid0(VALU_DEP_2) | instskip(SKIP_2) | instid1(VALU_DEP_3)
	v_cmp_le_i64_e64 s3, s[24:25], v[22:23]
	v_dual_mov_b32 v27, v23 :: v_dual_mov_b32 v26, v22
	v_add_nc_u32_e32 v22, s19, v22
	s_or_b32 s40, s3, s40
	s_delay_alu instid0(SALU_CYCLE_1)
	s_and_not1_b32 exec_lo, exec_lo, s40
	s_cbranch_execz .LBB16_17
.LBB16_57:                              ;   Parent Loop BB16_13 Depth=1
                                        ;     Parent Loop BB16_19 Depth=2
                                        ; =>    This Inner Loop Header: Depth=3
	v_ashrrev_i32_e32 v25, 31, v24
	s_mov_b32 s41, exec_lo
	s_delay_alu instid0(VALU_DEP_1) | instskip(NEXT) | instid1(VALU_DEP_1)
	v_lshlrev_b64 v[45:46], 3, v[24:25]
	v_add_co_u32 v45, s3, v28, v45
	s_delay_alu instid0(VALU_DEP_1)
	v_add_co_ci_u32_e64 v46, s3, v42, v46, s3
	global_load_b64 v[45:46], v[45:46], off
	s_waitcnt vmcnt(0)
	v_cmpx_eq_u64_e64 v[45:46], v[20:21]
	s_cbranch_execz .LBB16_56
; %bb.58:                               ;   in Loop: Header=BB16_57 Depth=3
	v_add_nc_u32_e32 v45, v6, v24
	v_lshlrev_b64 v[25:26], 3, v[26:27]
	s_delay_alu instid0(VALU_DEP_2) | instskip(NEXT) | instid1(VALU_DEP_1)
	v_ashrrev_i32_e32 v46, 31, v45
	v_lshlrev_b64 v[45:46], 3, v[45:46]
	s_delay_alu instid0(VALU_DEP_1) | instskip(NEXT) | instid1(VALU_DEP_1)
	v_add_co_u32 v45, s3, s27, v45
	v_add_co_ci_u32_e64 v46, s3, s28, v46, s3
	v_add_co_u32 v25, s3, v43, v25
	s_delay_alu instid0(VALU_DEP_1)
	v_add_co_ci_u32_e64 v26, s3, v44, v26, s3
	global_load_b64 v[45:46], v[45:46], off
	s_waitcnt vmcnt(0)
	global_store_b64 v[25:26], v[45:46], off
	s_branch .LBB16_56
.LBB16_59:
	s_nop 0
	s_sendmsg sendmsg(MSG_DEALLOC_VGPRS)
	s_endpgm
.LBB16_60:
                                        ; implicit-def: $vgpr4_vgpr5
	s_branch .LBB16_5
.LBB16_61:
                                        ; implicit-def: $vgpr7_vgpr8
	s_branch .LBB16_8
	.section	.rodata,"a",@progbits
	.p2align	6, 0x0
	.amdhsa_kernel _ZN2at6native12_GLOBAL__N_122max_pool_backward_nhwcIddEEvPKT_PKlillliiiiiiiiiiiiiiiPS3_
		.amdhsa_group_segment_fixed_size 0
		.amdhsa_private_segment_fixed_size 0
		.amdhsa_kernarg_size 376
		.amdhsa_user_sgpr_count 13
		.amdhsa_user_sgpr_dispatch_ptr 0
		.amdhsa_user_sgpr_queue_ptr 0
		.amdhsa_user_sgpr_kernarg_segment_ptr 1
		.amdhsa_user_sgpr_dispatch_id 0
		.amdhsa_user_sgpr_private_segment_size 0
		.amdhsa_wavefront_size32 1
		.amdhsa_uses_dynamic_stack 0
		.amdhsa_enable_private_segment 0
		.amdhsa_system_sgpr_workgroup_id_x 1
		.amdhsa_system_sgpr_workgroup_id_y 1
		.amdhsa_system_sgpr_workgroup_id_z 1
		.amdhsa_system_sgpr_workgroup_info 0
		.amdhsa_system_vgpr_workitem_id 2
		.amdhsa_next_free_vgpr 55
		.amdhsa_next_free_sgpr 48
		.amdhsa_reserve_vcc 1
		.amdhsa_float_round_mode_32 0
		.amdhsa_float_round_mode_16_64 0
		.amdhsa_float_denorm_mode_32 3
		.amdhsa_float_denorm_mode_16_64 3
		.amdhsa_dx10_clamp 1
		.amdhsa_ieee_mode 1
		.amdhsa_fp16_overflow 0
		.amdhsa_workgroup_processor_mode 1
		.amdhsa_memory_ordered 1
		.amdhsa_forward_progress 0
		.amdhsa_shared_vgpr_count 0
		.amdhsa_exception_fp_ieee_invalid_op 0
		.amdhsa_exception_fp_denorm_src 0
		.amdhsa_exception_fp_ieee_div_zero 0
		.amdhsa_exception_fp_ieee_overflow 0
		.amdhsa_exception_fp_ieee_underflow 0
		.amdhsa_exception_fp_ieee_inexact 0
		.amdhsa_exception_int_div_zero 0
	.end_amdhsa_kernel
	.section	.text._ZN2at6native12_GLOBAL__N_122max_pool_backward_nhwcIddEEvPKT_PKlillliiiiiiiiiiiiiiiPS3_,"axG",@progbits,_ZN2at6native12_GLOBAL__N_122max_pool_backward_nhwcIddEEvPKT_PKlillliiiiiiiiiiiiiiiPS3_,comdat
.Lfunc_end16:
	.size	_ZN2at6native12_GLOBAL__N_122max_pool_backward_nhwcIddEEvPKT_PKlillliiiiiiiiiiiiiiiPS3_, .Lfunc_end16-_ZN2at6native12_GLOBAL__N_122max_pool_backward_nhwcIddEEvPKT_PKlillliiiiiiiiiiiiiiiPS3_
                                        ; -- End function
	.section	.AMDGPU.csdata,"",@progbits
; Kernel info:
; codeLenInByte = 5076
; NumSgprs: 50
; NumVgprs: 55
; ScratchSize: 0
; MemoryBound: 0
; FloatMode: 240
; IeeeMode: 1
; LDSByteSize: 0 bytes/workgroup (compile time only)
; SGPRBlocks: 6
; VGPRBlocks: 6
; NumSGPRsForWavesPerEU: 50
; NumVGPRsForWavesPerEU: 55
; Occupancy: 16
; WaveLimiterHint : 0
; COMPUTE_PGM_RSRC2:SCRATCH_EN: 0
; COMPUTE_PGM_RSRC2:USER_SGPR: 13
; COMPUTE_PGM_RSRC2:TRAP_HANDLER: 0
; COMPUTE_PGM_RSRC2:TGID_X_EN: 1
; COMPUTE_PGM_RSRC2:TGID_Y_EN: 1
; COMPUTE_PGM_RSRC2:TGID_Z_EN: 1
; COMPUTE_PGM_RSRC2:TIDIG_COMP_CNT: 2
	.section	.text._ZN2at6native12_GLOBAL__N_122max_pool_backward_nchwIddiEEvPKT_PKlT1_S8_S8_S8_S8_S8_iiiiiiiiPS3_,"axG",@progbits,_ZN2at6native12_GLOBAL__N_122max_pool_backward_nchwIddiEEvPKT_PKlT1_S8_S8_S8_S8_S8_iiiiiiiiPS3_,comdat
	.globl	_ZN2at6native12_GLOBAL__N_122max_pool_backward_nchwIddiEEvPKT_PKlT1_S8_S8_S8_S8_S8_iiiiiiiiPS3_ ; -- Begin function _ZN2at6native12_GLOBAL__N_122max_pool_backward_nchwIddiEEvPKT_PKlT1_S8_S8_S8_S8_S8_iiiiiiiiPS3_
	.p2align	8
	.type	_ZN2at6native12_GLOBAL__N_122max_pool_backward_nchwIddiEEvPKT_PKlT1_S8_S8_S8_S8_S8_iiiiiiiiPS3_,@function
_ZN2at6native12_GLOBAL__N_122max_pool_backward_nchwIddiEEvPKT_PKlT1_S8_S8_S8_S8_S8_iiiiiiiiPS3_: ; @_ZN2at6native12_GLOBAL__N_122max_pool_backward_nchwIddiEEvPKT_PKlT1_S8_S8_S8_S8_S8_iiiiiiiiPS3_
; %bb.0:
	s_clause 0x1
	s_load_b32 s12, s[0:1], 0x5c
	s_load_b256 s[4:11], s[0:1], 0x10
	v_mov_b32_e32 v1, 0
	s_add_u32 s2, s0, 0x50
	s_addc_u32 s3, s1, 0
	s_waitcnt lgkmcnt(0)
	s_and_b32 s34, s12, 0xffff
	s_mul_i32 s12, s7, s6
	v_mad_u64_u32 v[2:3], null, s34, s13, v[0:1]
	s_ashr_i32 s13, s12, 31
	s_mov_b32 s6, exec_lo
	s_delay_alu instid0(VALU_DEP_1)
	v_cmpx_gt_i64_e64 s[12:13], v[2:3]
	s_cbranch_execz .LBB17_23
; %bb.1:
	s_load_b256 s[16:23], s[0:1], 0x30
	s_add_i32 s6, s10, -1
	s_add_i32 s24, s11, -1
	s_load_b32 s35, s[2:3], 0x0
	s_mul_i32 s36, s9, s8
	s_mov_b32 s33, 0
	s_mul_i32 s38, s36, s5
	s_waitcnt lgkmcnt(0)
	s_mul_i32 s6, s6, s20
	s_mul_i32 s24, s24, s21
	s_not_b32 s25, s6
	s_not_b32 s26, s24
	s_cmp_lt_i32 s14, s4
	s_mul_i32 s34, s35, s34
	s_cselect_b32 s27, -1, 0
	s_cmp_lt_i32 s15, s5
	s_cselect_b32 s28, -1, 0
	s_abs_i32 s29, s7
	s_abs_i32 s30, s16
	v_cvt_f32_u32_e32 v0, s29
	v_cvt_f32_u32_e32 v1, s30
	s_abs_i32 s31, s17
	s_sub_i32 s10, 0, s29
	v_cvt_f32_u32_e32 v4, s31
	v_rcp_iflag_f32_e32 v0, v0
	v_rcp_iflag_f32_e32 v1, v1
	s_sub_i32 s11, 0, s30
	s_sub_i32 s20, 0, s31
	v_rcp_iflag_f32_e32 v4, v4
	s_ashr_i32 s35, s7, 31
	s_ashr_i32 s16, s16, 31
	;; [unrolled: 1-line block ×3, first 2 shown]
	s_waitcnt_depctr 0xfff
	v_dual_mul_f32 v0, 0x4f7ffffe, v0 :: v_dual_mul_f32 v1, 0x4f7ffffe, v1
	s_delay_alu instid0(VALU_DEP_1) | instskip(NEXT) | instid1(VALU_DEP_2)
	v_cvt_u32_f32_e32 v0, v0
	v_cvt_u32_f32_e32 v5, v1
	s_delay_alu instid0(VALU_DEP_2) | instskip(NEXT) | instid1(VALU_DEP_2)
	v_mul_lo_u32 v1, s10, v0
	v_mul_lo_u32 v6, s11, v5
	s_delay_alu instid0(VALU_DEP_2) | instskip(SKIP_1) | instid1(VALU_DEP_3)
	v_mul_hi_u32 v1, v0, v1
	v_mul_f32_e32 v4, 0x4f7ffffe, v4
	v_mul_hi_u32 v6, v5, v6
	s_delay_alu instid0(VALU_DEP_3) | instskip(NEXT) | instid1(VALU_DEP_3)
	v_add_nc_u32_e32 v1, v0, v1
	v_cvt_u32_f32_e32 v4, v4
	s_delay_alu instid0(VALU_DEP_3) | instskip(NEXT) | instid1(VALU_DEP_2)
	v_add_nc_u32_e32 v12, v5, v6
	v_mul_lo_u32 v7, s20, v4
	s_clause 0x1
	s_load_b128 s[20:23], s[0:1], 0x0
	s_load_b64 s[10:11], s[0:1], 0x48
	s_mul_i32 s0, s14, s5
	s_delay_alu instid0(SALU_CYCLE_1) | instskip(NEXT) | instid1(SALU_CYCLE_1)
	s_add_i32 s0, s15, s0
	s_mul_i32 s37, s8, s0
	s_delay_alu instid0(VALU_DEP_1) | instskip(NEXT) | instid1(VALU_DEP_1)
	v_mul_hi_u32 v7, v4, v7
	v_add_nc_u32_e32 v13, v4, v7
	s_branch .LBB17_3
.LBB17_2:                               ;   in Loop: Header=BB17_3 Depth=1
	v_add_co_u32 v2, vcc_lo, v2, s34
	v_add_co_ci_u32_e32 v3, vcc_lo, 0, v3, vcc_lo
	s_delay_alu instid0(VALU_DEP_1) | instskip(SKIP_1) | instid1(SALU_CYCLE_1)
	v_cmp_le_i64_e32 vcc_lo, s[12:13], v[2:3]
	s_or_b32 s33, vcc_lo, s33
	s_and_not1_b32 exec_lo, exec_lo, s33
	s_cbranch_execz .LBB17_23
.LBB17_3:                               ; =>This Loop Header: Depth=1
                                        ;     Child Loop BB17_10 Depth 2
                                        ;       Child Loop BB17_14 Depth 3
                                        ;         Child Loop BB17_18 Depth 4
                                        ;           Child Loop BB17_21 Depth 5
	v_sub_nc_u32_e32 v0, 0, v2
	v_mov_b32_e32 v14, 0
	s_mov_b32 s0, exec_lo
	s_delay_alu instid0(VALU_DEP_2) | instskip(NEXT) | instid1(VALU_DEP_1)
	v_max_i32_e32 v0, v2, v0
	v_mul_hi_u32 v4, v0, v1
	s_delay_alu instid0(VALU_DEP_1) | instskip(NEXT) | instid1(VALU_DEP_1)
	v_mul_lo_u32 v5, v4, s29
	v_sub_nc_u32_e32 v0, v0, v5
	s_delay_alu instid0(VALU_DEP_1) | instskip(SKIP_1) | instid1(VALU_DEP_2)
	v_subrev_nc_u32_e32 v6, s29, v0
	v_cmp_le_u32_e32 vcc_lo, s29, v0
	v_dual_cndmask_b32 v0, v0, v6 :: v_dual_add_nc_u32 v5, 1, v4
	s_delay_alu instid0(VALU_DEP_1) | instskip(SKIP_1) | instid1(VALU_DEP_3)
	v_cndmask_b32_e32 v4, v4, v5, vcc_lo
	v_ashrrev_i32_e32 v5, 31, v2
	v_cmp_le_u32_e32 vcc_lo, s29, v0
	s_delay_alu instid0(VALU_DEP_3) | instskip(NEXT) | instid1(VALU_DEP_3)
	v_add_nc_u32_e32 v6, 1, v4
	v_xor_b32_e32 v5, s35, v5
	s_delay_alu instid0(VALU_DEP_2) | instskip(NEXT) | instid1(VALU_DEP_1)
	v_cndmask_b32_e32 v0, v4, v6, vcc_lo
	v_xor_b32_e32 v0, v0, v5
	s_delay_alu instid0(VALU_DEP_1) | instskip(SKIP_1) | instid1(VALU_DEP_2)
	v_sub_nc_u32_e32 v5, v0, v5
	v_mov_b32_e32 v0, 0
	v_add_nc_u32_e32 v4, s18, v5
	s_delay_alu instid0(VALU_DEP_1)
	v_cmpx_lt_i32_e64 s6, v4
	s_cbranch_execz .LBB17_5
; %bb.4:                                ;   in Loop: Header=BB17_3 Depth=1
	v_add_nc_u32_e32 v6, s25, v4
	s_delay_alu instid0(VALU_DEP_1) | instskip(NEXT) | instid1(VALU_DEP_1)
	v_sub_nc_u32_e32 v7, 0, v6
	v_max_i32_e32 v7, v6, v7
	s_delay_alu instid0(VALU_DEP_1) | instskip(NEXT) | instid1(VALU_DEP_1)
	v_mul_hi_u32 v8, v7, v12
	v_mul_lo_u32 v9, v8, s30
	s_delay_alu instid0(VALU_DEP_1) | instskip(SKIP_1) | instid1(VALU_DEP_2)
	v_sub_nc_u32_e32 v7, v7, v9
	v_add_nc_u32_e32 v9, 1, v8
	v_subrev_nc_u32_e32 v10, s30, v7
	v_cmp_le_u32_e32 vcc_lo, s30, v7
	s_delay_alu instid0(VALU_DEP_2) | instskip(SKIP_1) | instid1(VALU_DEP_2)
	v_dual_cndmask_b32 v7, v7, v10 :: v_dual_cndmask_b32 v8, v8, v9
	v_ashrrev_i32_e32 v6, 31, v6
	v_cmp_le_u32_e32 vcc_lo, s30, v7
	s_delay_alu instid0(VALU_DEP_3) | instskip(NEXT) | instid1(VALU_DEP_3)
	v_add_nc_u32_e32 v9, 1, v8
	v_xor_b32_e32 v6, s16, v6
	s_delay_alu instid0(VALU_DEP_2) | instskip(NEXT) | instid1(VALU_DEP_1)
	v_cndmask_b32_e32 v7, v8, v9, vcc_lo
	v_xor_b32_e32 v7, v7, v6
	s_delay_alu instid0(VALU_DEP_1) | instskip(NEXT) | instid1(VALU_DEP_1)
	v_sub_nc_u32_e32 v6, v7, v6
	v_add_nc_u32_e32 v14, 1, v6
.LBB17_5:                               ;   in Loop: Header=BB17_3 Depth=1
	s_or_b32 exec_lo, exec_lo, s0
	v_mul_lo_u32 v5, v5, s7
	s_mov_b32 s0, exec_lo
	s_delay_alu instid0(VALU_DEP_1) | instskip(NEXT) | instid1(VALU_DEP_1)
	v_sub_nc_u32_e32 v5, v2, v5
	v_add_nc_u32_e32 v5, s19, v5
	s_delay_alu instid0(VALU_DEP_1)
	v_cmpx_lt_i32_e64 s24, v5
	s_cbranch_execz .LBB17_7
; %bb.6:                                ;   in Loop: Header=BB17_3 Depth=1
	v_add_nc_u32_e32 v0, s26, v5
	s_delay_alu instid0(VALU_DEP_1) | instskip(NEXT) | instid1(VALU_DEP_1)
	v_sub_nc_u32_e32 v6, 0, v0
	v_max_i32_e32 v6, v0, v6
	s_delay_alu instid0(VALU_DEP_1) | instskip(NEXT) | instid1(VALU_DEP_1)
	v_mul_hi_u32 v7, v6, v13
	v_mul_lo_u32 v8, v7, s31
	s_delay_alu instid0(VALU_DEP_1) | instskip(SKIP_1) | instid1(VALU_DEP_2)
	v_sub_nc_u32_e32 v6, v6, v8
	v_add_nc_u32_e32 v8, 1, v7
	v_subrev_nc_u32_e32 v9, s31, v6
	v_cmp_le_u32_e32 vcc_lo, s31, v6
	s_delay_alu instid0(VALU_DEP_2) | instskip(SKIP_1) | instid1(VALU_DEP_2)
	v_dual_cndmask_b32 v7, v7, v8 :: v_dual_cndmask_b32 v6, v6, v9
	v_ashrrev_i32_e32 v0, 31, v0
	v_add_nc_u32_e32 v8, 1, v7
	s_delay_alu instid0(VALU_DEP_3) | instskip(NEXT) | instid1(VALU_DEP_3)
	v_cmp_le_u32_e32 vcc_lo, s31, v6
	v_xor_b32_e32 v0, s17, v0
	s_delay_alu instid0(VALU_DEP_3) | instskip(NEXT) | instid1(VALU_DEP_1)
	v_cndmask_b32_e32 v6, v7, v8, vcc_lo
	v_xor_b32_e32 v6, v6, v0
	s_delay_alu instid0(VALU_DEP_1) | instskip(NEXT) | instid1(VALU_DEP_1)
	v_sub_nc_u32_e32 v0, v6, v0
	v_add_nc_u32_e32 v0, 1, v0
.LBB17_7:                               ;   in Loop: Header=BB17_3 Depth=1
	s_or_b32 exec_lo, exec_lo, s0
	s_delay_alu instid0(SALU_CYCLE_1)
	s_and_not1_b32 vcc_lo, exec_lo, s27
	s_cbranch_vccnz .LBB17_2
; %bb.8:                                ;   in Loop: Header=BB17_3 Depth=1
	v_sub_nc_u32_e32 v7, 0, v4
	v_sub_nc_u32_e32 v6, 0, v5
	s_load_b32 s39, s[2:3], 0x4
	s_mov_b32 s41, s14
	s_delay_alu instid0(VALU_DEP_2) | instskip(NEXT) | instid1(VALU_DEP_2)
	v_max_i32_e32 v7, v4, v7
	v_max_i32_e32 v6, v5, v6
	v_ashrrev_i32_e32 v4, 31, v4
	v_ashrrev_i32_e32 v5, 31, v5
	s_delay_alu instid0(VALU_DEP_4) | instskip(NEXT) | instid1(VALU_DEP_4)
	v_mul_hi_u32 v9, v7, v12
	v_mul_hi_u32 v8, v6, v13
	s_delay_alu instid0(VALU_DEP_4) | instskip(NEXT) | instid1(VALU_DEP_4)
	v_xor_b32_e32 v4, s16, v4
	v_xor_b32_e32 v5, s17, v5
	s_delay_alu instid0(VALU_DEP_4) | instskip(NEXT) | instid1(VALU_DEP_4)
	v_mul_lo_u32 v11, v9, s30
	v_mul_lo_u32 v10, v8, s31
	s_waitcnt lgkmcnt(0)
	s_mul_i32 s40, s38, s39
	s_delay_alu instid0(VALU_DEP_2) | instskip(NEXT) | instid1(VALU_DEP_2)
	v_sub_nc_u32_e32 v7, v7, v11
	v_sub_nc_u32_e32 v6, v6, v10
	v_add_nc_u32_e32 v11, 1, v8
	s_delay_alu instid0(VALU_DEP_3)
	v_subrev_nc_u32_e32 v16, s30, v7
	v_cmp_le_u32_e32 vcc_lo, s30, v7
	v_add_nc_u32_e32 v10, 1, v9
	v_subrev_nc_u32_e32 v15, s31, v6
	v_cmp_le_u32_e64 s0, s31, v6
	v_cndmask_b32_e32 v7, v7, v16, vcc_lo
	s_delay_alu instid0(VALU_DEP_4) | instskip(NEXT) | instid1(VALU_DEP_3)
	v_cndmask_b32_e32 v9, v9, v10, vcc_lo
	v_cndmask_b32_e64 v6, v6, v15, s0
	s_delay_alu instid0(VALU_DEP_3) | instskip(NEXT) | instid1(VALU_DEP_3)
	v_cmp_le_u32_e32 vcc_lo, s30, v7
	v_add_nc_u32_e32 v10, 1, v9
	s_delay_alu instid0(VALU_DEP_1) | instskip(NEXT) | instid1(VALU_DEP_4)
	v_cndmask_b32_e32 v7, v9, v10, vcc_lo
	v_cmp_le_u32_e32 vcc_lo, s31, v6
	s_delay_alu instid0(VALU_DEP_2) | instskip(NEXT) | instid1(VALU_DEP_1)
	v_xor_b32_e32 v7, v7, v4
	v_sub_nc_u32_e32 v4, v7, v4
	s_delay_alu instid0(VALU_DEP_1) | instskip(NEXT) | instid1(VALU_DEP_1)
	v_add_nc_u32_e32 v4, 1, v4
	v_min_i32_e32 v15, s8, v4
	v_mov_b32_e32 v4, v2
	v_cndmask_b32_e64 v8, v8, v11, s0
	s_delay_alu instid0(VALU_DEP_3) | instskip(NEXT) | instid1(VALU_DEP_2)
	v_cmp_lt_i32_e64 s0, v14, v15
	v_add_nc_u32_e32 v11, 1, v8
	s_delay_alu instid0(VALU_DEP_1) | instskip(SKIP_1) | instid1(VALU_DEP_2)
	v_cndmask_b32_e32 v6, v8, v11, vcc_lo
	v_add_nc_u32_e32 v8, s37, v14
	v_xor_b32_e32 v6, v6, v5
	s_delay_alu instid0(VALU_DEP_1) | instskip(NEXT) | instid1(VALU_DEP_3)
	v_sub_nc_u32_e32 v5, v6, v5
	v_mad_u64_u32 v[6:7], null, s9, v8, v[0:1]
	s_delay_alu instid0(VALU_DEP_2) | instskip(NEXT) | instid1(VALU_DEP_1)
	v_add_nc_u32_e32 v5, 1, v5
	v_min_i32_e32 v16, s9, v5
	v_ashrrev_i32_e32 v5, 31, v2
	s_delay_alu instid0(VALU_DEP_2)
	v_cmp_lt_i32_e64 s1, v0, v16
	s_branch .LBB17_10
.LBB17_9:                               ;   in Loop: Header=BB17_10 Depth=2
	v_add_nc_u32_e32 v6, s40, v6
	s_add_i32 s41, s39, s41
	s_delay_alu instid0(SALU_CYCLE_1)
	s_cmp_ge_i32 s41, s4
	s_cbranch_scc1 .LBB17_2
.LBB17_10:                              ;   Parent Loop BB17_3 Depth=1
                                        ; =>  This Loop Header: Depth=2
                                        ;       Child Loop BB17_14 Depth 3
                                        ;         Child Loop BB17_18 Depth 4
                                        ;           Child Loop BB17_21 Depth 5
	s_and_not1_b32 vcc_lo, exec_lo, s28
	s_cbranch_vccnz .LBB17_9
; %bb.11:                               ;   in Loop: Header=BB17_10 Depth=2
	s_load_b32 s42, s[2:3], 0x8
	v_mov_b32_e32 v17, v6
	s_mul_i32 s43, s41, s5
	s_mov_b32 s45, s15
	s_waitcnt lgkmcnt(0)
	s_mul_i32 s44, s36, s42
	s_branch .LBB17_14
.LBB17_12:                              ;   in Loop: Header=BB17_14 Depth=3
	s_set_inst_prefetch_distance 0x2
	s_or_b32 exec_lo, exec_lo, s47
.LBB17_13:                              ;   in Loop: Header=BB17_14 Depth=3
	s_delay_alu instid0(SALU_CYCLE_1) | instskip(SKIP_4) | instid1(SALU_CYCLE_1)
	s_or_b32 exec_lo, exec_lo, s46
	s_add_i32 s46, s45, s43
	v_add_nc_u32_e32 v17, s44, v17
	v_mad_u64_u32 v[9:10], null, s12, s46, v[2:3]
	s_add_i32 s45, s42, s45
	s_cmp_ge_i32 s45, s5
	s_delay_alu instid0(VALU_DEP_1) | instskip(NEXT) | instid1(VALU_DEP_1)
	v_ashrrev_i32_e32 v10, 31, v9
	v_lshlrev_b64 v[9:10], 3, v[9:10]
	s_delay_alu instid0(VALU_DEP_1) | instskip(NEXT) | instid1(VALU_DEP_2)
	v_add_co_u32 v9, vcc_lo, s10, v9
	v_add_co_ci_u32_e32 v10, vcc_lo, s11, v10, vcc_lo
	global_store_b64 v[9:10], v[7:8], off
	s_cbranch_scc1 .LBB17_9
.LBB17_14:                              ;   Parent Loop BB17_3 Depth=1
                                        ;     Parent Loop BB17_10 Depth=2
                                        ; =>    This Loop Header: Depth=3
                                        ;         Child Loop BB17_18 Depth 4
                                        ;           Child Loop BB17_21 Depth 5
	v_mov_b32_e32 v7, 0
	v_mov_b32_e32 v8, 0
	s_and_saveexec_b32 s46, s0
	s_cbranch_execz .LBB17_13
; %bb.15:                               ;   in Loop: Header=BB17_14 Depth=3
	v_dual_mov_b32 v7, 0 :: v_dual_mov_b32 v18, v17
	v_dual_mov_b32 v8, 0 :: v_dual_mov_b32 v19, v14
	s_mov_b32 s47, 0
	s_set_inst_prefetch_distance 0x1
	s_branch .LBB17_18
	.p2align	6
.LBB17_16:                              ;   in Loop: Header=BB17_18 Depth=4
	s_or_b32 exec_lo, exec_lo, s49
.LBB17_17:                              ;   in Loop: Header=BB17_18 Depth=4
	s_delay_alu instid0(SALU_CYCLE_1) | instskip(SKIP_2) | instid1(VALU_DEP_2)
	s_or_b32 exec_lo, exec_lo, s48
	v_add_nc_u32_e32 v19, 1, v19
	v_add_nc_u32_e32 v18, s9, v18
	v_cmp_ge_i32_e32 vcc_lo, v19, v15
	s_or_b32 s47, vcc_lo, s47
	s_delay_alu instid0(SALU_CYCLE_1)
	s_and_not1_b32 exec_lo, exec_lo, s47
	s_cbranch_execz .LBB17_12
.LBB17_18:                              ;   Parent Loop BB17_3 Depth=1
                                        ;     Parent Loop BB17_10 Depth=2
                                        ;       Parent Loop BB17_14 Depth=3
                                        ; =>      This Loop Header: Depth=4
                                        ;           Child Loop BB17_21 Depth 5
	s_and_saveexec_b32 s48, s1
	s_cbranch_execz .LBB17_17
; %bb.19:                               ;   in Loop: Header=BB17_18 Depth=4
	v_dual_mov_b32 v9, v18 :: v_dual_mov_b32 v20, v0
	s_mov_b32 s49, 0
	s_branch .LBB17_21
	.p2align	6
.LBB17_20:                              ;   in Loop: Header=BB17_21 Depth=5
	s_or_b32 exec_lo, exec_lo, s50
	v_add_nc_u32_e32 v20, 1, v20
	v_add_nc_u32_e32 v9, 1, v9
	s_delay_alu instid0(VALU_DEP_2) | instskip(SKIP_1) | instid1(SALU_CYCLE_1)
	v_cmp_ge_i32_e32 vcc_lo, v20, v16
	s_or_b32 s49, vcc_lo, s49
	s_and_not1_b32 exec_lo, exec_lo, s49
	s_cbranch_execz .LBB17_16
.LBB17_21:                              ;   Parent Loop BB17_3 Depth=1
                                        ;     Parent Loop BB17_10 Depth=2
                                        ;       Parent Loop BB17_14 Depth=3
                                        ;         Parent Loop BB17_18 Depth=4
                                        ; =>        This Inner Loop Header: Depth=5
	s_delay_alu instid0(VALU_DEP_1) | instskip(SKIP_1) | instid1(VALU_DEP_1)
	v_ashrrev_i32_e32 v10, 31, v9
	s_mov_b32 s50, exec_lo
	v_lshlrev_b64 v[10:11], 3, v[9:10]
	s_delay_alu instid0(VALU_DEP_1) | instskip(NEXT) | instid1(VALU_DEP_2)
	v_add_co_u32 v21, vcc_lo, s22, v10
	v_add_co_ci_u32_e32 v22, vcc_lo, s23, v11, vcc_lo
	global_load_b64 v[21:22], v[21:22], off
	s_waitcnt vmcnt(0)
	v_cmpx_eq_u64_e64 v[21:22], v[4:5]
	s_cbranch_execz .LBB17_20
; %bb.22:                               ;   in Loop: Header=BB17_21 Depth=5
	v_add_co_u32 v10, vcc_lo, s20, v10
	v_add_co_ci_u32_e32 v11, vcc_lo, s21, v11, vcc_lo
	global_load_b64 v[10:11], v[10:11], off
	s_waitcnt vmcnt(0)
	v_add_f64 v[7:8], v[7:8], v[10:11]
	s_branch .LBB17_20
.LBB17_23:
	s_nop 0
	s_sendmsg sendmsg(MSG_DEALLOC_VGPRS)
	s_endpgm
	.section	.rodata,"a",@progbits
	.p2align	6, 0x0
	.amdhsa_kernel _ZN2at6native12_GLOBAL__N_122max_pool_backward_nchwIddiEEvPKT_PKlT1_S8_S8_S8_S8_S8_iiiiiiiiPS3_
		.amdhsa_group_segment_fixed_size 0
		.amdhsa_private_segment_fixed_size 0
		.amdhsa_kernarg_size 336
		.amdhsa_user_sgpr_count 13
		.amdhsa_user_sgpr_dispatch_ptr 0
		.amdhsa_user_sgpr_queue_ptr 0
		.amdhsa_user_sgpr_kernarg_segment_ptr 1
		.amdhsa_user_sgpr_dispatch_id 0
		.amdhsa_user_sgpr_private_segment_size 0
		.amdhsa_wavefront_size32 1
		.amdhsa_uses_dynamic_stack 0
		.amdhsa_enable_private_segment 0
		.amdhsa_system_sgpr_workgroup_id_x 1
		.amdhsa_system_sgpr_workgroup_id_y 1
		.amdhsa_system_sgpr_workgroup_id_z 1
		.amdhsa_system_sgpr_workgroup_info 0
		.amdhsa_system_vgpr_workitem_id 0
		.amdhsa_next_free_vgpr 23
		.amdhsa_next_free_sgpr 51
		.amdhsa_reserve_vcc 1
		.amdhsa_float_round_mode_32 0
		.amdhsa_float_round_mode_16_64 0
		.amdhsa_float_denorm_mode_32 3
		.amdhsa_float_denorm_mode_16_64 3
		.amdhsa_dx10_clamp 1
		.amdhsa_ieee_mode 1
		.amdhsa_fp16_overflow 0
		.amdhsa_workgroup_processor_mode 1
		.amdhsa_memory_ordered 1
		.amdhsa_forward_progress 0
		.amdhsa_shared_vgpr_count 0
		.amdhsa_exception_fp_ieee_invalid_op 0
		.amdhsa_exception_fp_denorm_src 0
		.amdhsa_exception_fp_ieee_div_zero 0
		.amdhsa_exception_fp_ieee_overflow 0
		.amdhsa_exception_fp_ieee_underflow 0
		.amdhsa_exception_fp_ieee_inexact 0
		.amdhsa_exception_int_div_zero 0
	.end_amdhsa_kernel
	.section	.text._ZN2at6native12_GLOBAL__N_122max_pool_backward_nchwIddiEEvPKT_PKlT1_S8_S8_S8_S8_S8_iiiiiiiiPS3_,"axG",@progbits,_ZN2at6native12_GLOBAL__N_122max_pool_backward_nchwIddiEEvPKT_PKlT1_S8_S8_S8_S8_S8_iiiiiiiiPS3_,comdat
.Lfunc_end17:
	.size	_ZN2at6native12_GLOBAL__N_122max_pool_backward_nchwIddiEEvPKT_PKlT1_S8_S8_S8_S8_S8_iiiiiiiiPS3_, .Lfunc_end17-_ZN2at6native12_GLOBAL__N_122max_pool_backward_nchwIddiEEvPKT_PKlT1_S8_S8_S8_S8_S8_iiiiiiiiPS3_
                                        ; -- End function
	.section	.AMDGPU.csdata,"",@progbits
; Kernel info:
; codeLenInByte = 1528
; NumSgprs: 53
; NumVgprs: 23
; ScratchSize: 0
; MemoryBound: 0
; FloatMode: 240
; IeeeMode: 1
; LDSByteSize: 0 bytes/workgroup (compile time only)
; SGPRBlocks: 6
; VGPRBlocks: 2
; NumSGPRsForWavesPerEU: 53
; NumVGPRsForWavesPerEU: 23
; Occupancy: 16
; WaveLimiterHint : 0
; COMPUTE_PGM_RSRC2:SCRATCH_EN: 0
; COMPUTE_PGM_RSRC2:USER_SGPR: 13
; COMPUTE_PGM_RSRC2:TRAP_HANDLER: 0
; COMPUTE_PGM_RSRC2:TGID_X_EN: 1
; COMPUTE_PGM_RSRC2:TGID_Y_EN: 1
; COMPUTE_PGM_RSRC2:TGID_Z_EN: 1
; COMPUTE_PGM_RSRC2:TIDIG_COMP_CNT: 0
	.section	.text._ZN2at6native12_GLOBAL__N_122max_pool_backward_nchwIddlEEvPKT_PKlT1_S8_S8_S8_S8_S8_iiiiiiiiPS3_,"axG",@progbits,_ZN2at6native12_GLOBAL__N_122max_pool_backward_nchwIddlEEvPKT_PKlT1_S8_S8_S8_S8_S8_iiiiiiiiPS3_,comdat
	.globl	_ZN2at6native12_GLOBAL__N_122max_pool_backward_nchwIddlEEvPKT_PKlT1_S8_S8_S8_S8_S8_iiiiiiiiPS3_ ; -- Begin function _ZN2at6native12_GLOBAL__N_122max_pool_backward_nchwIddlEEvPKT_PKlT1_S8_S8_S8_S8_S8_iiiiiiiiPS3_
	.p2align	8
	.type	_ZN2at6native12_GLOBAL__N_122max_pool_backward_nchwIddlEEvPKT_PKlT1_S8_S8_S8_S8_S8_iiiiiiiiPS3_,@function
_ZN2at6native12_GLOBAL__N_122max_pool_backward_nchwIddlEEvPKT_PKlT1_S8_S8_S8_S8_S8_iiiiiiiiPS3_: ; @_ZN2at6native12_GLOBAL__N_122max_pool_backward_nchwIddlEEvPKT_PKlT1_S8_S8_S8_S8_S8_iiiiiiiiPS3_
; %bb.0:
	s_clause 0x1
	s_load_b32 s2, s[0:1], 0x74
	s_load_b512 s[16:31], s[0:1], 0x0
	v_mov_b32_e32 v2, 0
	s_add_u32 s34, s0, 0x68
	s_addc_u32 s35, s1, 0
	s_delay_alu instid0(VALU_DEP_1) | instskip(SKIP_3) | instid1(VALU_DEP_1)
	v_mov_b32_e32 v1, v2
	s_waitcnt lgkmcnt(0)
	s_and_b32 s2, s2, 0xffff
	s_mul_i32 s3, s26, s25
	v_mad_u64_u32 v[4:5], null, s2, s13, v[0:1]
	s_mul_hi_u32 s4, s26, s24
	s_delay_alu instid0(SALU_CYCLE_1) | instskip(SKIP_4) | instid1(VALU_DEP_1)
	s_add_i32 s3, s4, s3
	s_mul_i32 s4, s27, s24
	s_mul_i32 s24, s26, s24
	s_add_i32 s25, s3, s4
	s_mov_b32 s3, exec_lo
	v_cmpx_gt_i64_e64 s[24:25], v[4:5]
	s_cbranch_execz .LBB18_43
; %bb.1:
	s_clause 0x1
	s_load_b256 s[4:11], s[0:1], 0x40
	s_load_b64 s[36:37], s[0:1], 0x60
	s_load_b32 s0, s[34:35], 0x0
	s_mul_i32 s1, s23, s14
	s_mul_hi_u32 s3, s22, s14
	v_cvt_f32_u32_e32 v0, s26
	s_add_i32 s3, s3, s1
	s_mov_b32 s12, s15
	s_mul_i32 s38, s22, s14
	s_mov_b32 s15, 0
	v_rcp_iflag_f32_e32 v0, v0
	s_mov_b32 s13, s15
	v_cmp_lt_i64_e64 s33, s[14:15], s[20:21]
	v_cmp_lt_i64_e64 s44, s[12:13], s[22:23]
	s_mov_b32 s56, s15
	s_waitcnt_depctr 0xfff
	v_mul_f32_e32 v0, 0x4f7ffffe, v0
	s_waitcnt lgkmcnt(0)
	s_add_i32 s1, s4, -1
	s_add_i32 s4, s5, -1
	s_mul_i32 s1, s1, s10
	s_mul_i32 s5, s4, s11
	s_ashr_i32 s47, s6, 31
	s_mov_b32 s48, s6
	s_add_i32 s4, s1, 1
	s_add_i32 s6, s5, 1
	s_ashr_i32 s45, s8, 31
	s_ashr_i32 s49, s9, 31
	;; [unrolled: 1-line block ×3, first 2 shown]
	s_mov_b32 s52, s7
	s_ashr_i32 s5, s4, 31
	s_ashr_i32 s7, s6, 31
	s_mov_b32 s46, s8
	s_add_u32 s8, s38, s12
	s_addc_u32 s1, s3, 0
	s_mul_i32 s53, s0, s2
	s_mul_i32 s0, s28, s1
	s_mul_hi_u32 s1, s28, s8
	s_mul_i32 s2, s30, s29
	s_add_i32 s0, s1, s0
	s_mul_i32 s1, s29, s8
	s_mul_hi_u32 s3, s30, s28
	s_add_i32 s54, s0, s1
	s_add_i32 s1, s3, s2
	s_mul_i32 s0, s30, s28
	s_mul_i32 s2, s31, s28
	s_mov_b32 s50, s9
	s_mul_i32 s3, s0, s23
	s_mul_hi_u32 s9, s0, s22
	s_add_i32 s1, s1, s2
	s_add_i32 s2, s9, s3
	s_mul_i32 s3, s1, s22
	v_cvt_u32_f32_e32 v34, v0
	s_add_i32 s3, s2, s3
	s_mul_i32 s2, s0, s22
	s_mul_i32 s55, s28, s8
	s_lshl_b64 s[8:9], s[2:3], 3
	s_lshl_b64 s[10:11], s[0:1], 3
	;; [unrolled: 1-line block ×3, first 2 shown]
	s_branch .LBB18_3
.LBB18_2:                               ;   in Loop: Header=BB18_3 Depth=1
	v_add_co_u32 v4, vcc_lo, v4, s53
	v_add_co_ci_u32_e32 v5, vcc_lo, 0, v5, vcc_lo
	s_delay_alu instid0(VALU_DEP_1) | instskip(SKIP_1) | instid1(SALU_CYCLE_1)
	v_cmp_le_i64_e32 vcc_lo, s[24:25], v[4:5]
	s_or_b32 s56, vcc_lo, s56
	s_and_not1_b32 exec_lo, exec_lo, s56
	s_cbranch_execz .LBB18_43
.LBB18_3:                               ; =>This Loop Header: Depth=1
                                        ;     Child Loop BB18_30 Depth 2
                                        ;       Child Loop BB18_34 Depth 3
                                        ;         Child Loop BB18_38 Depth 4
                                        ;           Child Loop BB18_41 Depth 5
	v_or_b32_e32 v3, s27, v5
                                        ; implicit-def: $vgpr8_vgpr9
	s_mov_b32 s0, exec_lo
	s_delay_alu instid0(VALU_DEP_1)
	v_cmpx_ne_u64_e32 0, v[2:3]
	s_xor_b32 s1, exec_lo, s0
	s_cbranch_execz .LBB18_5
; %bb.4:                                ;   in Loop: Header=BB18_3 Depth=1
	s_ashr_i32 s2, s27, 31
	s_delay_alu instid0(SALU_CYCLE_1) | instskip(SKIP_2) | instid1(SALU_CYCLE_1)
	s_add_u32 s40, s26, s2
	s_mov_b32 s3, s2
	s_addc_u32 s41, s27, s2
	s_xor_b64 s[40:41], s[40:41], s[2:3]
	s_delay_alu instid0(SALU_CYCLE_1) | instskip(SKIP_3) | instid1(VALU_DEP_1)
	v_cvt_f32_u32_e32 v0, s40
	v_cvt_f32_u32_e32 v1, s41
	s_sub_u32 s0, 0, s40
	s_subb_u32 s3, 0, s41
	v_fmac_f32_e32 v0, 0x4f800000, v1
	s_delay_alu instid0(VALU_DEP_1) | instskip(SKIP_2) | instid1(VALU_DEP_1)
	v_rcp_f32_e32 v0, v0
	s_waitcnt_depctr 0xfff
	v_mul_f32_e32 v0, 0x5f7ffffc, v0
	v_mul_f32_e32 v1, 0x2f800000, v0
	s_delay_alu instid0(VALU_DEP_1) | instskip(NEXT) | instid1(VALU_DEP_1)
	v_trunc_f32_e32 v1, v1
	v_fmac_f32_e32 v0, 0xcf800000, v1
	v_cvt_u32_f32_e32 v1, v1
	s_delay_alu instid0(VALU_DEP_2) | instskip(NEXT) | instid1(VALU_DEP_2)
	v_cvt_u32_f32_e32 v0, v0
	v_mul_lo_u32 v3, s0, v1
	s_delay_alu instid0(VALU_DEP_2) | instskip(SKIP_1) | instid1(VALU_DEP_2)
	v_mul_hi_u32 v6, s0, v0
	v_mul_lo_u32 v7, s3, v0
	v_add_nc_u32_e32 v3, v6, v3
	v_mul_lo_u32 v6, s0, v0
	s_delay_alu instid0(VALU_DEP_2) | instskip(NEXT) | instid1(VALU_DEP_2)
	v_add_nc_u32_e32 v3, v3, v7
	v_mul_hi_u32 v7, v0, v6
	s_delay_alu instid0(VALU_DEP_2)
	v_mul_lo_u32 v8, v0, v3
	v_mul_hi_u32 v9, v0, v3
	v_mul_hi_u32 v10, v1, v6
	v_mul_lo_u32 v6, v1, v6
	v_mul_hi_u32 v11, v1, v3
	v_mul_lo_u32 v3, v1, v3
	v_add_co_u32 v7, vcc_lo, v7, v8
	v_add_co_ci_u32_e32 v8, vcc_lo, 0, v9, vcc_lo
	s_delay_alu instid0(VALU_DEP_2) | instskip(NEXT) | instid1(VALU_DEP_2)
	v_add_co_u32 v6, vcc_lo, v7, v6
	v_add_co_ci_u32_e32 v6, vcc_lo, v8, v10, vcc_lo
	v_add_co_ci_u32_e32 v7, vcc_lo, 0, v11, vcc_lo
	v_ashrrev_i32_e32 v10, 31, v5
	s_delay_alu instid0(VALU_DEP_3) | instskip(NEXT) | instid1(VALU_DEP_3)
	v_add_co_u32 v3, vcc_lo, v6, v3
	v_add_co_ci_u32_e32 v6, vcc_lo, 0, v7, vcc_lo
	s_delay_alu instid0(VALU_DEP_2) | instskip(NEXT) | instid1(VALU_DEP_2)
	v_add_co_u32 v0, vcc_lo, v0, v3
	v_add_co_ci_u32_e32 v1, vcc_lo, v1, v6, vcc_lo
	s_delay_alu instid0(VALU_DEP_2) | instskip(SKIP_1) | instid1(VALU_DEP_3)
	v_mul_hi_u32 v3, s0, v0
	v_mul_lo_u32 v7, s3, v0
	v_mul_lo_u32 v6, s0, v1
	s_delay_alu instid0(VALU_DEP_1) | instskip(SKIP_1) | instid1(VALU_DEP_2)
	v_add_nc_u32_e32 v3, v3, v6
	v_mul_lo_u32 v6, s0, v0
	v_add_nc_u32_e32 v3, v3, v7
	s_delay_alu instid0(VALU_DEP_2) | instskip(NEXT) | instid1(VALU_DEP_2)
	v_mul_hi_u32 v7, v0, v6
	v_mul_lo_u32 v8, v0, v3
	v_mul_hi_u32 v9, v0, v3
	v_mul_hi_u32 v11, v1, v6
	v_mul_lo_u32 v6, v1, v6
	v_mul_hi_u32 v12, v1, v3
	v_mul_lo_u32 v3, v1, v3
	v_add_co_u32 v7, vcc_lo, v7, v8
	v_add_co_ci_u32_e32 v8, vcc_lo, 0, v9, vcc_lo
	s_delay_alu instid0(VALU_DEP_2) | instskip(NEXT) | instid1(VALU_DEP_2)
	v_add_co_u32 v6, vcc_lo, v7, v6
	v_add_co_ci_u32_e32 v6, vcc_lo, v8, v11, vcc_lo
	v_add_co_ci_u32_e32 v7, vcc_lo, 0, v12, vcc_lo
	v_add_co_u32 v8, vcc_lo, v4, v10
	v_add_co_ci_u32_e32 v9, vcc_lo, v5, v10, vcc_lo
	s_delay_alu instid0(VALU_DEP_4) | instskip(NEXT) | instid1(VALU_DEP_4)
	v_add_co_u32 v3, vcc_lo, v6, v3
	v_add_co_ci_u32_e32 v6, vcc_lo, 0, v7, vcc_lo
	s_delay_alu instid0(VALU_DEP_4) | instskip(NEXT) | instid1(VALU_DEP_3)
	v_xor_b32_e32 v11, v8, v10
	v_add_co_u32 v3, vcc_lo, v0, v3
	s_delay_alu instid0(VALU_DEP_3) | instskip(SKIP_1) | instid1(VALU_DEP_3)
	v_add_co_ci_u32_e32 v12, vcc_lo, v1, v6, vcc_lo
	v_xor_b32_e32 v13, v9, v10
	v_mul_hi_u32 v14, v11, v3
	s_delay_alu instid0(VALU_DEP_3) | instskip(NEXT) | instid1(VALU_DEP_3)
	v_mad_u64_u32 v[0:1], null, v11, v12, 0
	v_mad_u64_u32 v[6:7], null, v13, v3, 0
	v_mad_u64_u32 v[8:9], null, v13, v12, 0
	s_delay_alu instid0(VALU_DEP_3) | instskip(NEXT) | instid1(VALU_DEP_4)
	v_add_co_u32 v0, vcc_lo, v14, v0
	v_add_co_ci_u32_e32 v1, vcc_lo, 0, v1, vcc_lo
	s_delay_alu instid0(VALU_DEP_2) | instskip(NEXT) | instid1(VALU_DEP_2)
	v_add_co_u32 v0, vcc_lo, v0, v6
	v_add_co_ci_u32_e32 v0, vcc_lo, v1, v7, vcc_lo
	v_add_co_ci_u32_e32 v1, vcc_lo, 0, v9, vcc_lo
	s_delay_alu instid0(VALU_DEP_2) | instskip(NEXT) | instid1(VALU_DEP_2)
	v_add_co_u32 v3, vcc_lo, v0, v8
	v_add_co_ci_u32_e32 v6, vcc_lo, 0, v1, vcc_lo
	s_delay_alu instid0(VALU_DEP_2) | instskip(SKIP_1) | instid1(VALU_DEP_3)
	v_mul_lo_u32 v7, s41, v3
	v_mad_u64_u32 v[0:1], null, s40, v3, 0
	v_mul_lo_u32 v8, s40, v6
	s_delay_alu instid0(VALU_DEP_2) | instskip(NEXT) | instid1(VALU_DEP_2)
	v_sub_co_u32 v0, vcc_lo, v11, v0
	v_add3_u32 v1, v1, v8, v7
	s_delay_alu instid0(VALU_DEP_1) | instskip(NEXT) | instid1(VALU_DEP_1)
	v_sub_nc_u32_e32 v7, v13, v1
	v_subrev_co_ci_u32_e64 v7, s0, s41, v7, vcc_lo
	v_add_co_u32 v8, s0, v3, 2
	s_delay_alu instid0(VALU_DEP_1) | instskip(SKIP_3) | instid1(VALU_DEP_3)
	v_add_co_ci_u32_e64 v9, s0, 0, v6, s0
	v_sub_co_u32 v11, s0, v0, s40
	v_sub_co_ci_u32_e32 v1, vcc_lo, v13, v1, vcc_lo
	v_subrev_co_ci_u32_e64 v7, s0, 0, v7, s0
	v_cmp_le_u32_e32 vcc_lo, s40, v11
	s_delay_alu instid0(VALU_DEP_3) | instskip(SKIP_1) | instid1(VALU_DEP_4)
	v_cmp_eq_u32_e64 s0, s41, v1
	v_cndmask_b32_e64 v11, 0, -1, vcc_lo
	v_cmp_le_u32_e32 vcc_lo, s41, v7
	v_cndmask_b32_e64 v12, 0, -1, vcc_lo
	v_cmp_le_u32_e32 vcc_lo, s40, v0
	;; [unrolled: 2-line block ×3, first 2 shown]
	v_cndmask_b32_e64 v13, 0, -1, vcc_lo
	v_cmp_eq_u32_e32 vcc_lo, s41, v7
	s_delay_alu instid0(VALU_DEP_2) | instskip(SKIP_3) | instid1(VALU_DEP_3)
	v_cndmask_b32_e64 v0, v13, v0, s0
	v_cndmask_b32_e32 v7, v12, v11, vcc_lo
	v_add_co_u32 v11, vcc_lo, v3, 1
	v_add_co_ci_u32_e32 v12, vcc_lo, 0, v6, vcc_lo
	v_cmp_ne_u32_e32 vcc_lo, 0, v7
	s_delay_alu instid0(VALU_DEP_2) | instskip(NEXT) | instid1(VALU_DEP_4)
	v_cndmask_b32_e32 v1, v12, v9, vcc_lo
	v_cndmask_b32_e32 v7, v11, v8, vcc_lo
	v_cmp_ne_u32_e32 vcc_lo, 0, v0
	v_xor_b32_e32 v0, s2, v10
	s_delay_alu instid0(VALU_DEP_3) | instskip(SKIP_1) | instid1(VALU_DEP_2)
	v_cndmask_b32_e32 v3, v3, v7, vcc_lo
	v_cndmask_b32_e32 v1, v6, v1, vcc_lo
	v_xor_b32_e32 v3, v3, v0
	s_delay_alu instid0(VALU_DEP_2) | instskip(NEXT) | instid1(VALU_DEP_2)
	v_xor_b32_e32 v1, v1, v0
	v_sub_co_u32 v8, vcc_lo, v3, v0
	s_delay_alu instid0(VALU_DEP_2)
	v_sub_co_ci_u32_e32 v9, vcc_lo, v1, v0, vcc_lo
.LBB18_5:                               ;   in Loop: Header=BB18_3 Depth=1
	s_and_not1_saveexec_b32 s0, s1
	s_cbranch_execz .LBB18_7
; %bb.6:                                ;   in Loop: Header=BB18_3 Depth=1
	s_sub_i32 s1, 0, s26
	v_mov_b32_e32 v9, v2
	v_mul_lo_u32 v0, s1, v34
	s_delay_alu instid0(VALU_DEP_1) | instskip(NEXT) | instid1(VALU_DEP_1)
	v_mul_hi_u32 v0, v34, v0
	v_add_nc_u32_e32 v0, v34, v0
	s_delay_alu instid0(VALU_DEP_1) | instskip(NEXT) | instid1(VALU_DEP_1)
	v_mul_hi_u32 v0, v4, v0
	v_mul_lo_u32 v1, v0, s26
	v_add_nc_u32_e32 v3, 1, v0
	s_delay_alu instid0(VALU_DEP_2) | instskip(NEXT) | instid1(VALU_DEP_1)
	v_sub_nc_u32_e32 v1, v4, v1
	v_subrev_nc_u32_e32 v6, s26, v1
	v_cmp_le_u32_e32 vcc_lo, s26, v1
	s_delay_alu instid0(VALU_DEP_2) | instskip(NEXT) | instid1(VALU_DEP_1)
	v_dual_cndmask_b32 v1, v1, v6 :: v_dual_cndmask_b32 v0, v0, v3
	v_cmp_le_u32_e32 vcc_lo, s26, v1
	s_delay_alu instid0(VALU_DEP_2) | instskip(NEXT) | instid1(VALU_DEP_1)
	v_add_nc_u32_e32 v3, 1, v0
	v_cndmask_b32_e32 v8, v0, v3, vcc_lo
.LBB18_7:                               ;   in Loop: Header=BB18_3 Depth=1
	s_or_b32 exec_lo, exec_lo, s0
	s_delay_alu instid0(VALU_DEP_1) | instskip(SKIP_4) | instid1(VALU_DEP_2)
	v_add_co_u32 v10, vcc_lo, v8, s46
	v_mov_b32_e32 v0, 0
	v_add_co_ci_u32_e32 v11, vcc_lo, s45, v9, vcc_lo
	v_mov_b32_e32 v1, 0
	s_mov_b32 s1, exec_lo
	v_cmpx_le_i64_e64 s[4:5], v[10:11]
	s_cbranch_execz .LBB18_13
; %bb.8:                                ;   in Loop: Header=BB18_3 Depth=1
	v_sub_co_u32 v6, vcc_lo, v10, s4
	v_subrev_co_ci_u32_e32 v7, vcc_lo, s5, v11, vcc_lo
                                        ; implicit-def: $vgpr0_vgpr1
	s_mov_b32 s0, exec_lo
	s_delay_alu instid0(VALU_DEP_1) | instskip(NEXT) | instid1(VALU_DEP_1)
	v_or_b32_e32 v3, s47, v7
	v_cmpx_ne_u64_e32 0, v[2:3]
	s_xor_b32 s42, exec_lo, s0
	s_cbranch_execz .LBB18_10
; %bb.9:                                ;   in Loop: Header=BB18_3 Depth=1
	s_add_u32 s40, s48, s47
	s_mov_b32 s2, s47
	s_mov_b32 s3, s47
	s_addc_u32 s41, s47, s47
	s_delay_alu instid0(SALU_CYCLE_1) | instskip(NEXT) | instid1(SALU_CYCLE_1)
	s_xor_b64 s[40:41], s[40:41], s[2:3]
	v_cvt_f32_u32_e32 v0, s40
	v_cvt_f32_u32_e32 v1, s41
	s_sub_u32 s0, 0, s40
	s_subb_u32 s43, 0, s41
	s_delay_alu instid0(VALU_DEP_1) | instskip(NEXT) | instid1(VALU_DEP_1)
	v_fmac_f32_e32 v0, 0x4f800000, v1
	v_rcp_f32_e32 v0, v0
	s_waitcnt_depctr 0xfff
	v_mul_f32_e32 v0, 0x5f7ffffc, v0
	s_delay_alu instid0(VALU_DEP_1) | instskip(NEXT) | instid1(VALU_DEP_1)
	v_mul_f32_e32 v1, 0x2f800000, v0
	v_trunc_f32_e32 v1, v1
	s_delay_alu instid0(VALU_DEP_1) | instskip(SKIP_1) | instid1(VALU_DEP_2)
	v_fmac_f32_e32 v0, 0xcf800000, v1
	v_cvt_u32_f32_e32 v1, v1
	v_cvt_u32_f32_e32 v0, v0
	s_delay_alu instid0(VALU_DEP_2) | instskip(NEXT) | instid1(VALU_DEP_2)
	v_mul_lo_u32 v3, s0, v1
	v_mul_hi_u32 v12, s0, v0
	v_mul_lo_u32 v13, s43, v0
	s_delay_alu instid0(VALU_DEP_2) | instskip(SKIP_1) | instid1(VALU_DEP_2)
	v_add_nc_u32_e32 v3, v12, v3
	v_mul_lo_u32 v12, s0, v0
	v_add_nc_u32_e32 v3, v3, v13
	s_delay_alu instid0(VALU_DEP_2) | instskip(NEXT) | instid1(VALU_DEP_2)
	v_mul_hi_u32 v13, v0, v12
	v_mul_lo_u32 v14, v0, v3
	v_mul_hi_u32 v15, v0, v3
	v_mul_hi_u32 v16, v1, v12
	v_mul_lo_u32 v12, v1, v12
	v_mul_hi_u32 v17, v1, v3
	v_mul_lo_u32 v3, v1, v3
	v_add_co_u32 v13, vcc_lo, v13, v14
	v_add_co_ci_u32_e32 v14, vcc_lo, 0, v15, vcc_lo
	s_delay_alu instid0(VALU_DEP_2) | instskip(NEXT) | instid1(VALU_DEP_2)
	v_add_co_u32 v12, vcc_lo, v13, v12
	v_add_co_ci_u32_e32 v12, vcc_lo, v14, v16, vcc_lo
	v_add_co_ci_u32_e32 v13, vcc_lo, 0, v17, vcc_lo
	v_ashrrev_i32_e32 v16, 31, v7
	s_delay_alu instid0(VALU_DEP_3) | instskip(NEXT) | instid1(VALU_DEP_3)
	v_add_co_u32 v3, vcc_lo, v12, v3
	v_add_co_ci_u32_e32 v12, vcc_lo, 0, v13, vcc_lo
	s_delay_alu instid0(VALU_DEP_2) | instskip(NEXT) | instid1(VALU_DEP_2)
	v_add_co_u32 v0, vcc_lo, v0, v3
	v_add_co_ci_u32_e32 v1, vcc_lo, v1, v12, vcc_lo
	s_delay_alu instid0(VALU_DEP_2) | instskip(SKIP_1) | instid1(VALU_DEP_3)
	v_mul_hi_u32 v3, s0, v0
	v_mul_lo_u32 v13, s43, v0
	v_mul_lo_u32 v12, s0, v1
	s_delay_alu instid0(VALU_DEP_1) | instskip(SKIP_1) | instid1(VALU_DEP_2)
	v_add_nc_u32_e32 v3, v3, v12
	v_mul_lo_u32 v12, s0, v0
	v_add_nc_u32_e32 v3, v3, v13
	s_delay_alu instid0(VALU_DEP_2) | instskip(NEXT) | instid1(VALU_DEP_2)
	v_mul_hi_u32 v13, v0, v12
	v_mul_lo_u32 v14, v0, v3
	v_mul_hi_u32 v15, v0, v3
	v_mul_hi_u32 v17, v1, v12
	v_mul_lo_u32 v12, v1, v12
	v_mul_hi_u32 v18, v1, v3
	v_mul_lo_u32 v3, v1, v3
	v_add_co_u32 v13, vcc_lo, v13, v14
	v_add_co_ci_u32_e32 v14, vcc_lo, 0, v15, vcc_lo
	s_delay_alu instid0(VALU_DEP_2) | instskip(NEXT) | instid1(VALU_DEP_2)
	v_add_co_u32 v12, vcc_lo, v13, v12
	v_add_co_ci_u32_e32 v12, vcc_lo, v14, v17, vcc_lo
	v_add_co_ci_u32_e32 v13, vcc_lo, 0, v18, vcc_lo
	v_add_co_u32 v6, vcc_lo, v6, v16
	v_add_co_ci_u32_e32 v7, vcc_lo, v7, v16, vcc_lo
	s_delay_alu instid0(VALU_DEP_4) | instskip(NEXT) | instid1(VALU_DEP_4)
	v_add_co_u32 v3, vcc_lo, v12, v3
	v_add_co_ci_u32_e32 v12, vcc_lo, 0, v13, vcc_lo
	s_delay_alu instid0(VALU_DEP_4) | instskip(NEXT) | instid1(VALU_DEP_3)
	v_xor_b32_e32 v14, v6, v16
	v_add_co_u32 v3, vcc_lo, v0, v3
	s_delay_alu instid0(VALU_DEP_3) | instskip(SKIP_1) | instid1(VALU_DEP_3)
	v_add_co_ci_u32_e32 v15, vcc_lo, v1, v12, vcc_lo
	v_xor_b32_e32 v17, v7, v16
	v_mul_hi_u32 v18, v14, v3
	s_delay_alu instid0(VALU_DEP_3) | instskip(NEXT) | instid1(VALU_DEP_3)
	v_mad_u64_u32 v[0:1], null, v14, v15, 0
	v_mad_u64_u32 v[6:7], null, v17, v3, 0
	;; [unrolled: 1-line block ×3, first 2 shown]
	s_delay_alu instid0(VALU_DEP_3) | instskip(NEXT) | instid1(VALU_DEP_4)
	v_add_co_u32 v0, vcc_lo, v18, v0
	v_add_co_ci_u32_e32 v1, vcc_lo, 0, v1, vcc_lo
	s_delay_alu instid0(VALU_DEP_2) | instskip(NEXT) | instid1(VALU_DEP_2)
	v_add_co_u32 v0, vcc_lo, v0, v6
	v_add_co_ci_u32_e32 v0, vcc_lo, v1, v7, vcc_lo
	v_add_co_ci_u32_e32 v1, vcc_lo, 0, v13, vcc_lo
	s_delay_alu instid0(VALU_DEP_2) | instskip(NEXT) | instid1(VALU_DEP_2)
	v_add_co_u32 v3, vcc_lo, v0, v12
	v_add_co_ci_u32_e32 v6, vcc_lo, 0, v1, vcc_lo
	s_delay_alu instid0(VALU_DEP_2) | instskip(SKIP_1) | instid1(VALU_DEP_3)
	v_mul_lo_u32 v7, s41, v3
	v_mad_u64_u32 v[0:1], null, s40, v3, 0
	v_mul_lo_u32 v12, s40, v6
	s_delay_alu instid0(VALU_DEP_2) | instskip(NEXT) | instid1(VALU_DEP_2)
	v_sub_co_u32 v0, vcc_lo, v14, v0
	v_add3_u32 v1, v1, v12, v7
	s_delay_alu instid0(VALU_DEP_1) | instskip(NEXT) | instid1(VALU_DEP_1)
	v_sub_nc_u32_e32 v7, v17, v1
	v_subrev_co_ci_u32_e64 v7, s0, s41, v7, vcc_lo
	v_add_co_u32 v12, s0, v3, 2
	s_delay_alu instid0(VALU_DEP_1) | instskip(SKIP_3) | instid1(VALU_DEP_3)
	v_add_co_ci_u32_e64 v13, s0, 0, v6, s0
	v_sub_co_u32 v14, s0, v0, s40
	v_sub_co_ci_u32_e32 v1, vcc_lo, v17, v1, vcc_lo
	v_subrev_co_ci_u32_e64 v7, s0, 0, v7, s0
	v_cmp_le_u32_e32 vcc_lo, s40, v14
	s_delay_alu instid0(VALU_DEP_3) | instskip(SKIP_1) | instid1(VALU_DEP_4)
	v_cmp_eq_u32_e64 s0, s41, v1
	v_cndmask_b32_e64 v14, 0, -1, vcc_lo
	v_cmp_le_u32_e32 vcc_lo, s41, v7
	v_cndmask_b32_e64 v15, 0, -1, vcc_lo
	v_cmp_le_u32_e32 vcc_lo, s40, v0
	;; [unrolled: 2-line block ×3, first 2 shown]
	v_cndmask_b32_e64 v17, 0, -1, vcc_lo
	v_cmp_eq_u32_e32 vcc_lo, s41, v7
	s_delay_alu instid0(VALU_DEP_2) | instskip(SKIP_3) | instid1(VALU_DEP_3)
	v_cndmask_b32_e64 v0, v17, v0, s0
	v_cndmask_b32_e32 v7, v15, v14, vcc_lo
	v_add_co_u32 v14, vcc_lo, v3, 1
	v_add_co_ci_u32_e32 v15, vcc_lo, 0, v6, vcc_lo
	v_cmp_ne_u32_e32 vcc_lo, 0, v7
	s_delay_alu instid0(VALU_DEP_2) | instskip(NEXT) | instid1(VALU_DEP_4)
	v_cndmask_b32_e32 v1, v15, v13, vcc_lo
	v_cndmask_b32_e32 v7, v14, v12, vcc_lo
	v_cmp_ne_u32_e32 vcc_lo, 0, v0
	v_xor_b32_e32 v0, s2, v16
	s_delay_alu instid0(VALU_DEP_3) | instskip(SKIP_2) | instid1(VALU_DEP_3)
	v_cndmask_b32_e32 v3, v3, v7, vcc_lo
	v_cndmask_b32_e32 v1, v6, v1, vcc_lo
	v_xor_b32_e32 v6, s3, v16
	v_xor_b32_e32 v3, v3, v0
	s_delay_alu instid0(VALU_DEP_2) | instskip(NEXT) | instid1(VALU_DEP_2)
	v_xor_b32_e32 v1, v1, v6
	v_sub_co_u32 v0, vcc_lo, v3, v0
	s_delay_alu instid0(VALU_DEP_2)
	v_sub_co_ci_u32_e32 v1, vcc_lo, v1, v6, vcc_lo
                                        ; implicit-def: $vgpr6
.LBB18_10:                              ;   in Loop: Header=BB18_3 Depth=1
	s_and_not1_saveexec_b32 s0, s42
	s_cbranch_execz .LBB18_12
; %bb.11:                               ;   in Loop: Header=BB18_3 Depth=1
	v_cvt_f32_u32_e32 v0, s48
	s_sub_i32 s2, 0, s48
	s_delay_alu instid0(VALU_DEP_1) | instskip(SKIP_2) | instid1(VALU_DEP_1)
	v_rcp_iflag_f32_e32 v0, v0
	s_waitcnt_depctr 0xfff
	v_mul_f32_e32 v0, 0x4f7ffffe, v0
	v_cvt_u32_f32_e32 v0, v0
	s_delay_alu instid0(VALU_DEP_1) | instskip(NEXT) | instid1(VALU_DEP_1)
	v_mul_lo_u32 v1, s2, v0
	v_mul_hi_u32 v1, v0, v1
	s_delay_alu instid0(VALU_DEP_1) | instskip(NEXT) | instid1(VALU_DEP_1)
	v_add_nc_u32_e32 v0, v0, v1
	v_mul_hi_u32 v0, v6, v0
	s_delay_alu instid0(VALU_DEP_1) | instskip(SKIP_1) | instid1(VALU_DEP_2)
	v_mul_lo_u32 v1, v0, s48
	v_add_nc_u32_e32 v3, 1, v0
	v_sub_nc_u32_e32 v1, v6, v1
	s_delay_alu instid0(VALU_DEP_1) | instskip(SKIP_1) | instid1(VALU_DEP_2)
	v_subrev_nc_u32_e32 v6, s48, v1
	v_cmp_le_u32_e32 vcc_lo, s48, v1
	v_dual_cndmask_b32 v1, v1, v6 :: v_dual_cndmask_b32 v0, v0, v3
	s_delay_alu instid0(VALU_DEP_1) | instskip(SKIP_1) | instid1(VALU_DEP_3)
	v_cmp_le_u32_e32 vcc_lo, s48, v1
	v_mov_b32_e32 v1, v2
	v_add_nc_u32_e32 v3, 1, v0
	s_delay_alu instid0(VALU_DEP_1)
	v_cndmask_b32_e32 v0, v0, v3, vcc_lo
.LBB18_12:                              ;   in Loop: Header=BB18_3 Depth=1
	s_or_b32 exec_lo, exec_lo, s0
	s_delay_alu instid0(VALU_DEP_1)
	v_add_co_u32 v0, vcc_lo, v0, 1
	v_add_co_ci_u32_e32 v1, vcc_lo, 0, v1, vcc_lo
.LBB18_13:                              ;   in Loop: Header=BB18_3 Depth=1
	s_or_b32 exec_lo, exec_lo, s1
	v_or_b32_e32 v3, s47, v11
                                        ; implicit-def: $vgpr6_vgpr7
	s_mov_b32 s0, exec_lo
	s_delay_alu instid0(VALU_DEP_1)
	v_cmpx_ne_u64_e32 0, v[2:3]
	s_xor_b32 s1, exec_lo, s0
	s_cbranch_execz .LBB18_15
; %bb.14:                               ;   in Loop: Header=BB18_3 Depth=1
	s_add_u32 s40, s48, s47
	s_mov_b32 s2, s47
	s_mov_b32 s3, s47
	s_addc_u32 s41, s47, s47
	s_delay_alu instid0(SALU_CYCLE_1) | instskip(NEXT) | instid1(SALU_CYCLE_1)
	s_xor_b64 s[40:41], s[40:41], s[2:3]
	v_cvt_f32_u32_e32 v3, s40
	v_cvt_f32_u32_e32 v6, s41
	s_sub_u32 s0, 0, s40
	s_subb_u32 s42, 0, s41
	s_delay_alu instid0(VALU_DEP_1) | instskip(NEXT) | instid1(VALU_DEP_1)
	v_fmac_f32_e32 v3, 0x4f800000, v6
	v_rcp_f32_e32 v3, v3
	s_waitcnt_depctr 0xfff
	v_mul_f32_e32 v3, 0x5f7ffffc, v3
	s_delay_alu instid0(VALU_DEP_1) | instskip(NEXT) | instid1(VALU_DEP_1)
	v_mul_f32_e32 v6, 0x2f800000, v3
	v_trunc_f32_e32 v6, v6
	s_delay_alu instid0(VALU_DEP_1) | instskip(SKIP_1) | instid1(VALU_DEP_2)
	v_fmac_f32_e32 v3, 0xcf800000, v6
	v_cvt_u32_f32_e32 v6, v6
	v_cvt_u32_f32_e32 v3, v3
	s_delay_alu instid0(VALU_DEP_2) | instskip(NEXT) | instid1(VALU_DEP_2)
	v_mul_lo_u32 v7, s0, v6
	v_mul_hi_u32 v12, s0, v3
	v_mul_lo_u32 v13, s42, v3
	s_delay_alu instid0(VALU_DEP_2) | instskip(SKIP_1) | instid1(VALU_DEP_2)
	v_add_nc_u32_e32 v7, v12, v7
	v_mul_lo_u32 v12, s0, v3
	v_add_nc_u32_e32 v7, v7, v13
	s_delay_alu instid0(VALU_DEP_2) | instskip(NEXT) | instid1(VALU_DEP_2)
	v_mul_hi_u32 v13, v3, v12
	v_mul_lo_u32 v14, v3, v7
	v_mul_hi_u32 v15, v3, v7
	v_mul_hi_u32 v16, v6, v12
	v_mul_lo_u32 v12, v6, v12
	v_mul_hi_u32 v17, v6, v7
	v_mul_lo_u32 v7, v6, v7
	v_add_co_u32 v13, vcc_lo, v13, v14
	v_add_co_ci_u32_e32 v14, vcc_lo, 0, v15, vcc_lo
	s_delay_alu instid0(VALU_DEP_2) | instskip(NEXT) | instid1(VALU_DEP_2)
	v_add_co_u32 v12, vcc_lo, v13, v12
	v_add_co_ci_u32_e32 v12, vcc_lo, v14, v16, vcc_lo
	v_add_co_ci_u32_e32 v13, vcc_lo, 0, v17, vcc_lo
	v_ashrrev_i32_e32 v16, 31, v11
	s_delay_alu instid0(VALU_DEP_3) | instskip(NEXT) | instid1(VALU_DEP_3)
	v_add_co_u32 v7, vcc_lo, v12, v7
	v_add_co_ci_u32_e32 v12, vcc_lo, 0, v13, vcc_lo
	s_delay_alu instid0(VALU_DEP_2) | instskip(NEXT) | instid1(VALU_DEP_2)
	v_add_co_u32 v3, vcc_lo, v3, v7
	v_add_co_ci_u32_e32 v6, vcc_lo, v6, v12, vcc_lo
	s_delay_alu instid0(VALU_DEP_2) | instskip(SKIP_1) | instid1(VALU_DEP_3)
	v_mul_hi_u32 v7, s0, v3
	v_mul_lo_u32 v13, s42, v3
	v_mul_lo_u32 v12, s0, v6
	s_delay_alu instid0(VALU_DEP_1) | instskip(SKIP_1) | instid1(VALU_DEP_2)
	v_add_nc_u32_e32 v7, v7, v12
	v_mul_lo_u32 v12, s0, v3
	v_add_nc_u32_e32 v7, v7, v13
	s_delay_alu instid0(VALU_DEP_2) | instskip(NEXT) | instid1(VALU_DEP_2)
	v_mul_hi_u32 v13, v3, v12
	v_mul_lo_u32 v14, v3, v7
	v_mul_hi_u32 v15, v3, v7
	v_mul_hi_u32 v17, v6, v12
	v_mul_lo_u32 v12, v6, v12
	v_mul_hi_u32 v18, v6, v7
	v_mul_lo_u32 v7, v6, v7
	v_add_co_u32 v13, vcc_lo, v13, v14
	v_add_co_ci_u32_e32 v14, vcc_lo, 0, v15, vcc_lo
	s_delay_alu instid0(VALU_DEP_2) | instskip(NEXT) | instid1(VALU_DEP_2)
	v_add_co_u32 v12, vcc_lo, v13, v12
	v_add_co_ci_u32_e32 v12, vcc_lo, v14, v17, vcc_lo
	v_add_co_ci_u32_e32 v13, vcc_lo, 0, v18, vcc_lo
	v_add_co_u32 v10, vcc_lo, v10, v16
	v_add_co_ci_u32_e32 v11, vcc_lo, v11, v16, vcc_lo
	s_delay_alu instid0(VALU_DEP_4) | instskip(NEXT) | instid1(VALU_DEP_4)
	v_add_co_u32 v7, vcc_lo, v12, v7
	v_add_co_ci_u32_e32 v12, vcc_lo, 0, v13, vcc_lo
	s_delay_alu instid0(VALU_DEP_4) | instskip(NEXT) | instid1(VALU_DEP_3)
	v_xor_b32_e32 v14, v10, v16
	v_add_co_u32 v3, vcc_lo, v3, v7
	s_delay_alu instid0(VALU_DEP_3) | instskip(SKIP_1) | instid1(VALU_DEP_3)
	v_add_co_ci_u32_e32 v15, vcc_lo, v6, v12, vcc_lo
	v_xor_b32_e32 v17, v11, v16
	v_mul_hi_u32 v18, v14, v3
	s_delay_alu instid0(VALU_DEP_3) | instskip(NEXT) | instid1(VALU_DEP_3)
	v_mad_u64_u32 v[6:7], null, v14, v15, 0
	v_mad_u64_u32 v[10:11], null, v17, v3, 0
	;; [unrolled: 1-line block ×3, first 2 shown]
	s_delay_alu instid0(VALU_DEP_3) | instskip(NEXT) | instid1(VALU_DEP_4)
	v_add_co_u32 v3, vcc_lo, v18, v6
	v_add_co_ci_u32_e32 v6, vcc_lo, 0, v7, vcc_lo
	s_delay_alu instid0(VALU_DEP_2) | instskip(NEXT) | instid1(VALU_DEP_2)
	v_add_co_u32 v3, vcc_lo, v3, v10
	v_add_co_ci_u32_e32 v3, vcc_lo, v6, v11, vcc_lo
	v_add_co_ci_u32_e32 v6, vcc_lo, 0, v13, vcc_lo
	s_delay_alu instid0(VALU_DEP_2) | instskip(NEXT) | instid1(VALU_DEP_2)
	v_add_co_u32 v3, vcc_lo, v3, v12
	v_add_co_ci_u32_e32 v10, vcc_lo, 0, v6, vcc_lo
	s_delay_alu instid0(VALU_DEP_2) | instskip(SKIP_1) | instid1(VALU_DEP_3)
	v_mul_lo_u32 v11, s41, v3
	v_mad_u64_u32 v[6:7], null, s40, v3, 0
	v_mul_lo_u32 v12, s40, v10
	s_delay_alu instid0(VALU_DEP_2) | instskip(NEXT) | instid1(VALU_DEP_2)
	v_sub_co_u32 v6, vcc_lo, v14, v6
	v_add3_u32 v7, v7, v12, v11
	s_delay_alu instid0(VALU_DEP_1) | instskip(NEXT) | instid1(VALU_DEP_1)
	v_sub_nc_u32_e32 v11, v17, v7
	v_subrev_co_ci_u32_e64 v11, s0, s41, v11, vcc_lo
	v_add_co_u32 v12, s0, v3, 2
	s_delay_alu instid0(VALU_DEP_1) | instskip(SKIP_3) | instid1(VALU_DEP_3)
	v_add_co_ci_u32_e64 v13, s0, 0, v10, s0
	v_sub_co_u32 v14, s0, v6, s40
	v_sub_co_ci_u32_e32 v7, vcc_lo, v17, v7, vcc_lo
	v_subrev_co_ci_u32_e64 v11, s0, 0, v11, s0
	v_cmp_le_u32_e32 vcc_lo, s40, v14
	s_delay_alu instid0(VALU_DEP_3) | instskip(SKIP_1) | instid1(VALU_DEP_4)
	v_cmp_eq_u32_e64 s0, s41, v7
	v_cndmask_b32_e64 v14, 0, -1, vcc_lo
	v_cmp_le_u32_e32 vcc_lo, s41, v11
	v_cndmask_b32_e64 v15, 0, -1, vcc_lo
	v_cmp_le_u32_e32 vcc_lo, s40, v6
	;; [unrolled: 2-line block ×3, first 2 shown]
	v_cndmask_b32_e64 v17, 0, -1, vcc_lo
	v_cmp_eq_u32_e32 vcc_lo, s41, v11
	s_delay_alu instid0(VALU_DEP_2) | instskip(SKIP_3) | instid1(VALU_DEP_3)
	v_cndmask_b32_e64 v6, v17, v6, s0
	v_cndmask_b32_e32 v11, v15, v14, vcc_lo
	v_add_co_u32 v14, vcc_lo, v3, 1
	v_add_co_ci_u32_e32 v15, vcc_lo, 0, v10, vcc_lo
	v_cmp_ne_u32_e32 vcc_lo, 0, v11
	s_delay_alu instid0(VALU_DEP_2) | instskip(NEXT) | instid1(VALU_DEP_4)
	v_cndmask_b32_e32 v7, v15, v13, vcc_lo
	v_cndmask_b32_e32 v11, v14, v12, vcc_lo
	v_cmp_ne_u32_e32 vcc_lo, 0, v6
	v_xor_b32_e32 v6, s2, v16
	s_delay_alu instid0(VALU_DEP_3) | instskip(SKIP_2) | instid1(VALU_DEP_3)
	v_cndmask_b32_e32 v3, v3, v11, vcc_lo
	v_cndmask_b32_e32 v7, v10, v7, vcc_lo
	v_xor_b32_e32 v10, s3, v16
	v_xor_b32_e32 v3, v3, v6
	s_delay_alu instid0(VALU_DEP_2) | instskip(NEXT) | instid1(VALU_DEP_2)
	v_xor_b32_e32 v7, v7, v10
	v_sub_co_u32 v6, vcc_lo, v3, v6
	s_delay_alu instid0(VALU_DEP_2)
	v_sub_co_ci_u32_e32 v7, vcc_lo, v7, v10, vcc_lo
                                        ; implicit-def: $vgpr10
.LBB18_15:                              ;   in Loop: Header=BB18_3 Depth=1
	s_and_not1_saveexec_b32 s0, s1
	s_cbranch_execz .LBB18_17
; %bb.16:                               ;   in Loop: Header=BB18_3 Depth=1
	v_cvt_f32_u32_e32 v3, s48
	s_sub_i32 s1, 0, s48
	s_delay_alu instid0(VALU_DEP_1) | instskip(SKIP_2) | instid1(VALU_DEP_1)
	v_rcp_iflag_f32_e32 v3, v3
	s_waitcnt_depctr 0xfff
	v_mul_f32_e32 v3, 0x4f7ffffe, v3
	v_cvt_u32_f32_e32 v3, v3
	s_delay_alu instid0(VALU_DEP_1) | instskip(NEXT) | instid1(VALU_DEP_1)
	v_mul_lo_u32 v6, s1, v3
	v_mul_hi_u32 v6, v3, v6
	s_delay_alu instid0(VALU_DEP_1) | instskip(NEXT) | instid1(VALU_DEP_1)
	v_add_nc_u32_e32 v3, v3, v6
	v_mul_hi_u32 v3, v10, v3
	s_delay_alu instid0(VALU_DEP_1) | instskip(SKIP_1) | instid1(VALU_DEP_2)
	v_mul_lo_u32 v6, v3, s48
	v_add_nc_u32_e32 v7, 1, v3
	v_sub_nc_u32_e32 v6, v10, v6
	s_delay_alu instid0(VALU_DEP_1) | instskip(SKIP_1) | instid1(VALU_DEP_2)
	v_subrev_nc_u32_e32 v10, s48, v6
	v_cmp_le_u32_e32 vcc_lo, s48, v6
	v_dual_cndmask_b32 v6, v6, v10 :: v_dual_cndmask_b32 v3, v3, v7
	s_delay_alu instid0(VALU_DEP_1) | instskip(NEXT) | instid1(VALU_DEP_2)
	v_cmp_le_u32_e32 vcc_lo, s48, v6
	v_add_nc_u32_e32 v7, 1, v3
	s_delay_alu instid0(VALU_DEP_1)
	v_dual_cndmask_b32 v6, v3, v7 :: v_dual_mov_b32 v7, v2
.LBB18_17:                              ;   in Loop: Header=BB18_3 Depth=1
	s_or_b32 exec_lo, exec_lo, s0
	v_mul_lo_u32 v3, v9, s26
	v_mul_lo_u32 v11, v8, s27
	v_mad_u64_u32 v[9:10], null, v8, s26, 0
	s_mov_b32 s1, exec_lo
	s_delay_alu instid0(VALU_DEP_1) | instskip(NEXT) | instid1(VALU_DEP_2)
	v_add3_u32 v3, v10, v11, v3
	v_sub_co_u32 v8, vcc_lo, v4, v9
	s_delay_alu instid0(VALU_DEP_2) | instskip(NEXT) | instid1(VALU_DEP_2)
	v_sub_co_ci_u32_e32 v3, vcc_lo, v5, v3, vcc_lo
	v_add_co_u32 v10, vcc_lo, v8, s50
	v_mov_b32_e32 v8, 0
	s_delay_alu instid0(VALU_DEP_3) | instskip(SKIP_1) | instid1(VALU_DEP_2)
	v_add_co_ci_u32_e32 v11, vcc_lo, s49, v3, vcc_lo
	v_mov_b32_e32 v9, 0
	v_cmpx_le_i64_e64 s[6:7], v[10:11]
	s_cbranch_execz .LBB18_23
; %bb.18:                               ;   in Loop: Header=BB18_3 Depth=1
	v_sub_co_u32 v12, vcc_lo, v10, s6
	v_subrev_co_ci_u32_e32 v13, vcc_lo, s7, v11, vcc_lo
                                        ; implicit-def: $vgpr8_vgpr9
	s_mov_b32 s0, exec_lo
	s_delay_alu instid0(VALU_DEP_1) | instskip(NEXT) | instid1(VALU_DEP_1)
	v_or_b32_e32 v3, s51, v13
	v_cmpx_ne_u64_e32 0, v[2:3]
	s_xor_b32 s42, exec_lo, s0
	s_cbranch_execz .LBB18_20
; %bb.19:                               ;   in Loop: Header=BB18_3 Depth=1
	s_add_u32 s40, s52, s51
	s_mov_b32 s2, s51
	s_mov_b32 s3, s51
	s_addc_u32 s41, s51, s51
	s_delay_alu instid0(SALU_CYCLE_1) | instskip(NEXT) | instid1(SALU_CYCLE_1)
	s_xor_b64 s[40:41], s[40:41], s[2:3]
	v_cvt_f32_u32_e32 v3, s40
	v_cvt_f32_u32_e32 v8, s41
	s_sub_u32 s0, 0, s40
	s_subb_u32 s43, 0, s41
	s_delay_alu instid0(VALU_DEP_1) | instskip(NEXT) | instid1(VALU_DEP_1)
	v_fmac_f32_e32 v3, 0x4f800000, v8
	v_rcp_f32_e32 v3, v3
	s_waitcnt_depctr 0xfff
	v_mul_f32_e32 v3, 0x5f7ffffc, v3
	s_delay_alu instid0(VALU_DEP_1) | instskip(NEXT) | instid1(VALU_DEP_1)
	v_mul_f32_e32 v8, 0x2f800000, v3
	v_trunc_f32_e32 v8, v8
	s_delay_alu instid0(VALU_DEP_1) | instskip(SKIP_1) | instid1(VALU_DEP_2)
	v_fmac_f32_e32 v3, 0xcf800000, v8
	v_cvt_u32_f32_e32 v8, v8
	v_cvt_u32_f32_e32 v3, v3
	s_delay_alu instid0(VALU_DEP_2) | instskip(NEXT) | instid1(VALU_DEP_2)
	v_mul_lo_u32 v9, s0, v8
	v_mul_hi_u32 v14, s0, v3
	v_mul_lo_u32 v15, s43, v3
	s_delay_alu instid0(VALU_DEP_2) | instskip(SKIP_1) | instid1(VALU_DEP_2)
	v_add_nc_u32_e32 v9, v14, v9
	v_mul_lo_u32 v14, s0, v3
	v_add_nc_u32_e32 v9, v9, v15
	s_delay_alu instid0(VALU_DEP_2) | instskip(NEXT) | instid1(VALU_DEP_2)
	v_mul_hi_u32 v15, v3, v14
	v_mul_lo_u32 v16, v3, v9
	v_mul_hi_u32 v17, v3, v9
	v_mul_hi_u32 v18, v8, v14
	v_mul_lo_u32 v14, v8, v14
	v_mul_hi_u32 v19, v8, v9
	v_mul_lo_u32 v9, v8, v9
	v_add_co_u32 v15, vcc_lo, v15, v16
	v_add_co_ci_u32_e32 v16, vcc_lo, 0, v17, vcc_lo
	s_delay_alu instid0(VALU_DEP_2) | instskip(NEXT) | instid1(VALU_DEP_2)
	v_add_co_u32 v14, vcc_lo, v15, v14
	v_add_co_ci_u32_e32 v14, vcc_lo, v16, v18, vcc_lo
	v_add_co_ci_u32_e32 v15, vcc_lo, 0, v19, vcc_lo
	v_ashrrev_i32_e32 v18, 31, v13
	s_delay_alu instid0(VALU_DEP_3) | instskip(NEXT) | instid1(VALU_DEP_3)
	v_add_co_u32 v9, vcc_lo, v14, v9
	v_add_co_ci_u32_e32 v14, vcc_lo, 0, v15, vcc_lo
	s_delay_alu instid0(VALU_DEP_2) | instskip(NEXT) | instid1(VALU_DEP_2)
	v_add_co_u32 v3, vcc_lo, v3, v9
	v_add_co_ci_u32_e32 v8, vcc_lo, v8, v14, vcc_lo
	s_delay_alu instid0(VALU_DEP_2) | instskip(SKIP_1) | instid1(VALU_DEP_3)
	v_mul_hi_u32 v9, s0, v3
	v_mul_lo_u32 v15, s43, v3
	v_mul_lo_u32 v14, s0, v8
	s_delay_alu instid0(VALU_DEP_1) | instskip(SKIP_1) | instid1(VALU_DEP_2)
	v_add_nc_u32_e32 v9, v9, v14
	v_mul_lo_u32 v14, s0, v3
	v_add_nc_u32_e32 v9, v9, v15
	s_delay_alu instid0(VALU_DEP_2) | instskip(NEXT) | instid1(VALU_DEP_2)
	v_mul_hi_u32 v15, v3, v14
	v_mul_lo_u32 v16, v3, v9
	v_mul_hi_u32 v17, v3, v9
	v_mul_hi_u32 v19, v8, v14
	v_mul_lo_u32 v14, v8, v14
	v_mul_hi_u32 v20, v8, v9
	v_mul_lo_u32 v9, v8, v9
	v_add_co_u32 v15, vcc_lo, v15, v16
	v_add_co_ci_u32_e32 v16, vcc_lo, 0, v17, vcc_lo
	s_delay_alu instid0(VALU_DEP_2) | instskip(NEXT) | instid1(VALU_DEP_2)
	v_add_co_u32 v14, vcc_lo, v15, v14
	v_add_co_ci_u32_e32 v14, vcc_lo, v16, v19, vcc_lo
	v_add_co_ci_u32_e32 v15, vcc_lo, 0, v20, vcc_lo
	v_add_co_u32 v12, vcc_lo, v12, v18
	v_add_co_ci_u32_e32 v13, vcc_lo, v13, v18, vcc_lo
	s_delay_alu instid0(VALU_DEP_4) | instskip(NEXT) | instid1(VALU_DEP_4)
	v_add_co_u32 v9, vcc_lo, v14, v9
	v_add_co_ci_u32_e32 v14, vcc_lo, 0, v15, vcc_lo
	s_delay_alu instid0(VALU_DEP_4) | instskip(NEXT) | instid1(VALU_DEP_3)
	v_xor_b32_e32 v16, v12, v18
	v_add_co_u32 v3, vcc_lo, v3, v9
	s_delay_alu instid0(VALU_DEP_3) | instskip(SKIP_1) | instid1(VALU_DEP_3)
	v_add_co_ci_u32_e32 v17, vcc_lo, v8, v14, vcc_lo
	v_xor_b32_e32 v19, v13, v18
	v_mul_hi_u32 v20, v16, v3
	s_delay_alu instid0(VALU_DEP_3) | instskip(NEXT) | instid1(VALU_DEP_3)
	v_mad_u64_u32 v[8:9], null, v16, v17, 0
	v_mad_u64_u32 v[12:13], null, v19, v3, 0
	;; [unrolled: 1-line block ×3, first 2 shown]
	s_delay_alu instid0(VALU_DEP_3) | instskip(NEXT) | instid1(VALU_DEP_4)
	v_add_co_u32 v3, vcc_lo, v20, v8
	v_add_co_ci_u32_e32 v8, vcc_lo, 0, v9, vcc_lo
	s_delay_alu instid0(VALU_DEP_2) | instskip(NEXT) | instid1(VALU_DEP_2)
	v_add_co_u32 v3, vcc_lo, v3, v12
	v_add_co_ci_u32_e32 v3, vcc_lo, v8, v13, vcc_lo
	v_add_co_ci_u32_e32 v8, vcc_lo, 0, v15, vcc_lo
	s_delay_alu instid0(VALU_DEP_2) | instskip(NEXT) | instid1(VALU_DEP_2)
	v_add_co_u32 v3, vcc_lo, v3, v14
	v_add_co_ci_u32_e32 v12, vcc_lo, 0, v8, vcc_lo
	s_delay_alu instid0(VALU_DEP_2) | instskip(SKIP_1) | instid1(VALU_DEP_3)
	v_mul_lo_u32 v13, s41, v3
	v_mad_u64_u32 v[8:9], null, s40, v3, 0
	v_mul_lo_u32 v14, s40, v12
	s_delay_alu instid0(VALU_DEP_2) | instskip(NEXT) | instid1(VALU_DEP_2)
	v_sub_co_u32 v8, vcc_lo, v16, v8
	v_add3_u32 v9, v9, v14, v13
	s_delay_alu instid0(VALU_DEP_1) | instskip(NEXT) | instid1(VALU_DEP_1)
	v_sub_nc_u32_e32 v13, v19, v9
	v_subrev_co_ci_u32_e64 v13, s0, s41, v13, vcc_lo
	v_add_co_u32 v14, s0, v3, 2
	s_delay_alu instid0(VALU_DEP_1) | instskip(SKIP_3) | instid1(VALU_DEP_3)
	v_add_co_ci_u32_e64 v15, s0, 0, v12, s0
	v_sub_co_u32 v16, s0, v8, s40
	v_sub_co_ci_u32_e32 v9, vcc_lo, v19, v9, vcc_lo
	v_subrev_co_ci_u32_e64 v13, s0, 0, v13, s0
	v_cmp_le_u32_e32 vcc_lo, s40, v16
	s_delay_alu instid0(VALU_DEP_3) | instskip(SKIP_1) | instid1(VALU_DEP_4)
	v_cmp_eq_u32_e64 s0, s41, v9
	v_cndmask_b32_e64 v16, 0, -1, vcc_lo
	v_cmp_le_u32_e32 vcc_lo, s41, v13
	v_cndmask_b32_e64 v17, 0, -1, vcc_lo
	v_cmp_le_u32_e32 vcc_lo, s40, v8
	;; [unrolled: 2-line block ×3, first 2 shown]
	v_cndmask_b32_e64 v19, 0, -1, vcc_lo
	v_cmp_eq_u32_e32 vcc_lo, s41, v13
	s_delay_alu instid0(VALU_DEP_2) | instskip(SKIP_3) | instid1(VALU_DEP_3)
	v_cndmask_b32_e64 v8, v19, v8, s0
	v_cndmask_b32_e32 v13, v17, v16, vcc_lo
	v_add_co_u32 v16, vcc_lo, v3, 1
	v_add_co_ci_u32_e32 v17, vcc_lo, 0, v12, vcc_lo
	v_cmp_ne_u32_e32 vcc_lo, 0, v13
	s_delay_alu instid0(VALU_DEP_2) | instskip(NEXT) | instid1(VALU_DEP_4)
	v_cndmask_b32_e32 v9, v17, v15, vcc_lo
	v_cndmask_b32_e32 v13, v16, v14, vcc_lo
	v_cmp_ne_u32_e32 vcc_lo, 0, v8
	v_xor_b32_e32 v8, s2, v18
	s_delay_alu instid0(VALU_DEP_3) | instskip(SKIP_2) | instid1(VALU_DEP_3)
	v_cndmask_b32_e32 v3, v3, v13, vcc_lo
	v_cndmask_b32_e32 v9, v12, v9, vcc_lo
	v_xor_b32_e32 v12, s3, v18
	v_xor_b32_e32 v3, v3, v8
	s_delay_alu instid0(VALU_DEP_2) | instskip(NEXT) | instid1(VALU_DEP_2)
	v_xor_b32_e32 v9, v9, v12
	v_sub_co_u32 v8, vcc_lo, v3, v8
	s_delay_alu instid0(VALU_DEP_2)
	v_sub_co_ci_u32_e32 v9, vcc_lo, v9, v12, vcc_lo
                                        ; implicit-def: $vgpr12
.LBB18_20:                              ;   in Loop: Header=BB18_3 Depth=1
	s_and_not1_saveexec_b32 s0, s42
	s_cbranch_execz .LBB18_22
; %bb.21:                               ;   in Loop: Header=BB18_3 Depth=1
	v_cvt_f32_u32_e32 v3, s52
	s_sub_i32 s2, 0, s52
	s_delay_alu instid0(VALU_DEP_1) | instskip(SKIP_2) | instid1(VALU_DEP_1)
	v_rcp_iflag_f32_e32 v3, v3
	s_waitcnt_depctr 0xfff
	v_mul_f32_e32 v3, 0x4f7ffffe, v3
	v_cvt_u32_f32_e32 v3, v3
	s_delay_alu instid0(VALU_DEP_1) | instskip(NEXT) | instid1(VALU_DEP_1)
	v_mul_lo_u32 v8, s2, v3
	v_mul_hi_u32 v8, v3, v8
	s_delay_alu instid0(VALU_DEP_1) | instskip(NEXT) | instid1(VALU_DEP_1)
	v_add_nc_u32_e32 v3, v3, v8
	v_mul_hi_u32 v3, v12, v3
	s_delay_alu instid0(VALU_DEP_1) | instskip(SKIP_1) | instid1(VALU_DEP_2)
	v_mul_lo_u32 v8, v3, s52
	v_add_nc_u32_e32 v9, 1, v3
	v_sub_nc_u32_e32 v8, v12, v8
	s_delay_alu instid0(VALU_DEP_1) | instskip(SKIP_1) | instid1(VALU_DEP_2)
	v_subrev_nc_u32_e32 v12, s52, v8
	v_cmp_le_u32_e32 vcc_lo, s52, v8
	v_dual_cndmask_b32 v8, v8, v12 :: v_dual_cndmask_b32 v3, v3, v9
	s_delay_alu instid0(VALU_DEP_1) | instskip(NEXT) | instid1(VALU_DEP_2)
	v_cmp_le_u32_e32 vcc_lo, s52, v8
	v_add_nc_u32_e32 v9, 1, v3
	s_delay_alu instid0(VALU_DEP_1)
	v_dual_cndmask_b32 v8, v3, v9 :: v_dual_mov_b32 v9, v2
.LBB18_22:                              ;   in Loop: Header=BB18_3 Depth=1
	s_or_b32 exec_lo, exec_lo, s0
	s_delay_alu instid0(VALU_DEP_1) | instskip(NEXT) | instid1(VALU_DEP_2)
	v_add_co_u32 v8, vcc_lo, v8, 1
	v_add_co_ci_u32_e32 v9, vcc_lo, 0, v9, vcc_lo
.LBB18_23:                              ;   in Loop: Header=BB18_3 Depth=1
	s_or_b32 exec_lo, exec_lo, s1
	v_or_b32_e32 v3, s51, v11
                                        ; implicit-def: $vgpr12_vgpr13
	s_mov_b32 s0, exec_lo
	s_delay_alu instid0(VALU_DEP_1)
	v_cmpx_ne_u64_e32 0, v[2:3]
	s_xor_b32 s1, exec_lo, s0
	s_cbranch_execnz .LBB18_26
; %bb.24:                               ;   in Loop: Header=BB18_3 Depth=1
	s_and_not1_saveexec_b32 s0, s1
	s_cbranch_execnz .LBB18_27
.LBB18_25:                              ;   in Loop: Header=BB18_3 Depth=1
	s_or_b32 exec_lo, exec_lo, s0
	s_delay_alu instid0(SALU_CYCLE_1)
	s_and_not1_b32 vcc_lo, exec_lo, s33
	s_cbranch_vccnz .LBB18_2
	s_branch .LBB18_28
.LBB18_26:                              ;   in Loop: Header=BB18_3 Depth=1
	s_add_u32 s40, s52, s51
	s_mov_b32 s2, s51
	s_mov_b32 s3, s51
	s_addc_u32 s41, s51, s51
	s_delay_alu instid0(SALU_CYCLE_1) | instskip(NEXT) | instid1(SALU_CYCLE_1)
	s_xor_b64 s[40:41], s[40:41], s[2:3]
	v_cvt_f32_u32_e32 v3, s40
	v_cvt_f32_u32_e32 v12, s41
	s_sub_u32 s0, 0, s40
	s_subb_u32 s42, 0, s41
	s_delay_alu instid0(VALU_DEP_1) | instskip(NEXT) | instid1(VALU_DEP_1)
	v_fmac_f32_e32 v3, 0x4f800000, v12
	v_rcp_f32_e32 v3, v3
	s_waitcnt_depctr 0xfff
	v_mul_f32_e32 v3, 0x5f7ffffc, v3
	s_delay_alu instid0(VALU_DEP_1) | instskip(NEXT) | instid1(VALU_DEP_1)
	v_mul_f32_e32 v12, 0x2f800000, v3
	v_trunc_f32_e32 v12, v12
	s_delay_alu instid0(VALU_DEP_1) | instskip(SKIP_1) | instid1(VALU_DEP_2)
	v_fmac_f32_e32 v3, 0xcf800000, v12
	v_cvt_u32_f32_e32 v12, v12
	v_cvt_u32_f32_e32 v3, v3
	s_delay_alu instid0(VALU_DEP_2) | instskip(NEXT) | instid1(VALU_DEP_2)
	v_mul_lo_u32 v13, s0, v12
	v_mul_hi_u32 v14, s0, v3
	v_mul_lo_u32 v15, s42, v3
	s_delay_alu instid0(VALU_DEP_2) | instskip(SKIP_1) | instid1(VALU_DEP_2)
	v_add_nc_u32_e32 v13, v14, v13
	v_mul_lo_u32 v14, s0, v3
	v_add_nc_u32_e32 v13, v13, v15
	s_delay_alu instid0(VALU_DEP_2) | instskip(NEXT) | instid1(VALU_DEP_2)
	v_mul_hi_u32 v15, v3, v14
	v_mul_lo_u32 v16, v3, v13
	v_mul_hi_u32 v17, v3, v13
	v_mul_hi_u32 v18, v12, v14
	v_mul_lo_u32 v14, v12, v14
	v_mul_hi_u32 v19, v12, v13
	v_mul_lo_u32 v13, v12, v13
	v_add_co_u32 v15, vcc_lo, v15, v16
	v_add_co_ci_u32_e32 v16, vcc_lo, 0, v17, vcc_lo
	s_delay_alu instid0(VALU_DEP_2) | instskip(NEXT) | instid1(VALU_DEP_2)
	v_add_co_u32 v14, vcc_lo, v15, v14
	v_add_co_ci_u32_e32 v14, vcc_lo, v16, v18, vcc_lo
	v_add_co_ci_u32_e32 v15, vcc_lo, 0, v19, vcc_lo
	v_ashrrev_i32_e32 v18, 31, v11
	s_delay_alu instid0(VALU_DEP_3) | instskip(NEXT) | instid1(VALU_DEP_3)
	v_add_co_u32 v13, vcc_lo, v14, v13
	v_add_co_ci_u32_e32 v14, vcc_lo, 0, v15, vcc_lo
	s_delay_alu instid0(VALU_DEP_2) | instskip(NEXT) | instid1(VALU_DEP_2)
	v_add_co_u32 v3, vcc_lo, v3, v13
	v_add_co_ci_u32_e32 v12, vcc_lo, v12, v14, vcc_lo
	s_delay_alu instid0(VALU_DEP_2) | instskip(SKIP_1) | instid1(VALU_DEP_3)
	v_mul_hi_u32 v13, s0, v3
	v_mul_lo_u32 v15, s42, v3
	v_mul_lo_u32 v14, s0, v12
	s_delay_alu instid0(VALU_DEP_1) | instskip(SKIP_1) | instid1(VALU_DEP_2)
	v_add_nc_u32_e32 v13, v13, v14
	v_mul_lo_u32 v14, s0, v3
	v_add_nc_u32_e32 v13, v13, v15
	s_delay_alu instid0(VALU_DEP_2) | instskip(NEXT) | instid1(VALU_DEP_2)
	v_mul_hi_u32 v15, v3, v14
	v_mul_lo_u32 v16, v3, v13
	v_mul_hi_u32 v17, v3, v13
	v_mul_hi_u32 v19, v12, v14
	v_mul_lo_u32 v14, v12, v14
	v_mul_hi_u32 v20, v12, v13
	v_mul_lo_u32 v13, v12, v13
	v_add_co_u32 v15, vcc_lo, v15, v16
	v_add_co_ci_u32_e32 v16, vcc_lo, 0, v17, vcc_lo
	s_delay_alu instid0(VALU_DEP_2) | instskip(NEXT) | instid1(VALU_DEP_2)
	v_add_co_u32 v14, vcc_lo, v15, v14
	v_add_co_ci_u32_e32 v14, vcc_lo, v16, v19, vcc_lo
	v_add_co_ci_u32_e32 v15, vcc_lo, 0, v20, vcc_lo
	v_add_co_u32 v10, vcc_lo, v10, v18
	v_add_co_ci_u32_e32 v11, vcc_lo, v11, v18, vcc_lo
	s_delay_alu instid0(VALU_DEP_4) | instskip(NEXT) | instid1(VALU_DEP_4)
	v_add_co_u32 v13, vcc_lo, v14, v13
	v_add_co_ci_u32_e32 v14, vcc_lo, 0, v15, vcc_lo
	s_delay_alu instid0(VALU_DEP_4) | instskip(NEXT) | instid1(VALU_DEP_3)
	v_xor_b32_e32 v16, v10, v18
	v_add_co_u32 v3, vcc_lo, v3, v13
	s_delay_alu instid0(VALU_DEP_3) | instskip(SKIP_1) | instid1(VALU_DEP_3)
	v_add_co_ci_u32_e32 v17, vcc_lo, v12, v14, vcc_lo
	v_xor_b32_e32 v19, v11, v18
	v_mul_hi_u32 v20, v16, v3
	s_delay_alu instid0(VALU_DEP_3) | instskip(NEXT) | instid1(VALU_DEP_3)
	v_mad_u64_u32 v[10:11], null, v16, v17, 0
	v_mad_u64_u32 v[12:13], null, v19, v3, 0
	;; [unrolled: 1-line block ×3, first 2 shown]
	s_delay_alu instid0(VALU_DEP_3) | instskip(NEXT) | instid1(VALU_DEP_4)
	v_add_co_u32 v3, vcc_lo, v20, v10
	v_add_co_ci_u32_e32 v10, vcc_lo, 0, v11, vcc_lo
	s_delay_alu instid0(VALU_DEP_2) | instskip(NEXT) | instid1(VALU_DEP_2)
	v_add_co_u32 v3, vcc_lo, v3, v12
	v_add_co_ci_u32_e32 v3, vcc_lo, v10, v13, vcc_lo
	v_add_co_ci_u32_e32 v10, vcc_lo, 0, v15, vcc_lo
	s_delay_alu instid0(VALU_DEP_2) | instskip(NEXT) | instid1(VALU_DEP_2)
	v_add_co_u32 v3, vcc_lo, v3, v14
	v_add_co_ci_u32_e32 v12, vcc_lo, 0, v10, vcc_lo
	s_delay_alu instid0(VALU_DEP_2) | instskip(SKIP_1) | instid1(VALU_DEP_3)
	v_mul_lo_u32 v13, s41, v3
	v_mad_u64_u32 v[10:11], null, s40, v3, 0
	v_mul_lo_u32 v14, s40, v12
	s_delay_alu instid0(VALU_DEP_2) | instskip(NEXT) | instid1(VALU_DEP_2)
	v_sub_co_u32 v10, vcc_lo, v16, v10
	v_add3_u32 v11, v11, v14, v13
	s_delay_alu instid0(VALU_DEP_1) | instskip(NEXT) | instid1(VALU_DEP_1)
	v_sub_nc_u32_e32 v13, v19, v11
	v_subrev_co_ci_u32_e64 v13, s0, s41, v13, vcc_lo
	v_add_co_u32 v14, s0, v3, 2
	s_delay_alu instid0(VALU_DEP_1) | instskip(SKIP_3) | instid1(VALU_DEP_3)
	v_add_co_ci_u32_e64 v15, s0, 0, v12, s0
	v_sub_co_u32 v16, s0, v10, s40
	v_sub_co_ci_u32_e32 v11, vcc_lo, v19, v11, vcc_lo
	v_subrev_co_ci_u32_e64 v13, s0, 0, v13, s0
	v_cmp_le_u32_e32 vcc_lo, s40, v16
	s_delay_alu instid0(VALU_DEP_3) | instskip(SKIP_1) | instid1(VALU_DEP_4)
	v_cmp_eq_u32_e64 s0, s41, v11
	v_cndmask_b32_e64 v16, 0, -1, vcc_lo
	v_cmp_le_u32_e32 vcc_lo, s41, v13
	v_cndmask_b32_e64 v17, 0, -1, vcc_lo
	v_cmp_le_u32_e32 vcc_lo, s40, v10
	v_cndmask_b32_e64 v10, 0, -1, vcc_lo
	v_cmp_le_u32_e32 vcc_lo, s41, v11
	v_cndmask_b32_e64 v19, 0, -1, vcc_lo
	v_cmp_eq_u32_e32 vcc_lo, s41, v13
	s_delay_alu instid0(VALU_DEP_2) | instskip(SKIP_3) | instid1(VALU_DEP_3)
	v_cndmask_b32_e64 v10, v19, v10, s0
	v_cndmask_b32_e32 v13, v17, v16, vcc_lo
	v_add_co_u32 v16, vcc_lo, v3, 1
	v_add_co_ci_u32_e32 v17, vcc_lo, 0, v12, vcc_lo
	v_cmp_ne_u32_e32 vcc_lo, 0, v13
	s_delay_alu instid0(VALU_DEP_2) | instskip(NEXT) | instid1(VALU_DEP_4)
	v_cndmask_b32_e32 v11, v17, v15, vcc_lo
	v_cndmask_b32_e32 v13, v16, v14, vcc_lo
	v_cmp_ne_u32_e32 vcc_lo, 0, v10
	v_xor_b32_e32 v10, s2, v18
	s_delay_alu instid0(VALU_DEP_3) | instskip(SKIP_2) | instid1(VALU_DEP_3)
	v_cndmask_b32_e32 v3, v3, v13, vcc_lo
	v_cndmask_b32_e32 v11, v12, v11, vcc_lo
	v_xor_b32_e32 v13, s3, v18
	v_xor_b32_e32 v3, v3, v10
	s_delay_alu instid0(VALU_DEP_2) | instskip(NEXT) | instid1(VALU_DEP_2)
	v_xor_b32_e32 v11, v11, v13
	v_sub_co_u32 v12, vcc_lo, v3, v10
	s_delay_alu instid0(VALU_DEP_2)
	v_sub_co_ci_u32_e32 v13, vcc_lo, v11, v13, vcc_lo
                                        ; implicit-def: $vgpr10
	s_and_not1_saveexec_b32 s0, s1
	s_cbranch_execz .LBB18_25
.LBB18_27:                              ;   in Loop: Header=BB18_3 Depth=1
	v_cvt_f32_u32_e32 v3, s52
	s_sub_i32 s1, 0, s52
	v_mov_b32_e32 v13, v2
	s_delay_alu instid0(VALU_DEP_2) | instskip(SKIP_2) | instid1(VALU_DEP_1)
	v_rcp_iflag_f32_e32 v3, v3
	s_waitcnt_depctr 0xfff
	v_mul_f32_e32 v3, 0x4f7ffffe, v3
	v_cvt_u32_f32_e32 v3, v3
	s_delay_alu instid0(VALU_DEP_1) | instskip(NEXT) | instid1(VALU_DEP_1)
	v_mul_lo_u32 v11, s1, v3
	v_mul_hi_u32 v11, v3, v11
	s_delay_alu instid0(VALU_DEP_1) | instskip(NEXT) | instid1(VALU_DEP_1)
	v_add_nc_u32_e32 v3, v3, v11
	v_mul_hi_u32 v3, v10, v3
	s_delay_alu instid0(VALU_DEP_1) | instskip(NEXT) | instid1(VALU_DEP_1)
	v_mul_lo_u32 v11, v3, s52
	v_sub_nc_u32_e32 v10, v10, v11
	v_add_nc_u32_e32 v11, 1, v3
	s_delay_alu instid0(VALU_DEP_2) | instskip(SKIP_1) | instid1(VALU_DEP_2)
	v_subrev_nc_u32_e32 v12, s52, v10
	v_cmp_le_u32_e32 vcc_lo, s52, v10
	v_dual_cndmask_b32 v10, v10, v12 :: v_dual_cndmask_b32 v3, v3, v11
	s_delay_alu instid0(VALU_DEP_1) | instskip(NEXT) | instid1(VALU_DEP_2)
	v_cmp_le_u32_e32 vcc_lo, s52, v10
	v_add_nc_u32_e32 v11, 1, v3
	s_delay_alu instid0(VALU_DEP_1) | instskip(SKIP_1) | instid1(SALU_CYCLE_1)
	v_cndmask_b32_e32 v12, v3, v11, vcc_lo
	s_or_b32 exec_lo, exec_lo, s0
	s_and_not1_b32 vcc_lo, exec_lo, s33
	s_cbranch_vccnz .LBB18_2
.LBB18_28:                              ;   in Loop: Header=BB18_3 Depth=1
	v_add_co_u32 v3, vcc_lo, s55, v0
	v_add_co_ci_u32_e32 v14, vcc_lo, s54, v1, vcc_lo
	v_add_co_u32 v10, vcc_lo, v12, 1
	v_add_co_ci_u32_e32 v11, vcc_lo, 0, v13, vcc_lo
	s_delay_alu instid0(VALU_DEP_3)
	v_mul_lo_u32 v16, s30, v14
	v_mul_lo_u32 v17, s31, v3
	v_mad_u64_u32 v[12:13], null, s30, v3, v[8:9]
	v_add_co_u32 v14, vcc_lo, v6, 1
	v_add_co_ci_u32_e32 v15, vcc_lo, 0, v7, vcc_lo
	s_load_b32 s3, s[34:35], 0x4
	v_cmp_gt_i64_e32 vcc_lo, s[30:31], v[10:11]
	s_delay_alu instid0(VALU_DEP_4) | instskip(NEXT) | instid1(VALU_DEP_3)
	v_add3_u32 v13, v17, v13, v16
	v_cmp_gt_i64_e64 s0, s[28:29], v[14:15]
	v_lshlrev_b64 v[16:17], 3, v[4:5]
	v_cndmask_b32_e32 v7, s31, v11, vcc_lo
	v_cndmask_b32_e32 v6, s30, v10, vcc_lo
	s_delay_alu instid0(VALU_DEP_4) | instskip(SKIP_4) | instid1(VALU_DEP_4)
	v_cndmask_b32_e64 v11, s29, v15, s0
	v_cndmask_b32_e64 v10, s28, v14, s0
	v_lshlrev_b64 v[14:15], 3, v[12:13]
	v_add_co_u32 v3, vcc_lo, s36, v16
	v_add_co_ci_u32_e32 v35, vcc_lo, s37, v17, vcc_lo
	v_cmp_lt_i64_e64 s0, v[0:1], v[10:11]
	s_delay_alu instid0(VALU_DEP_4)
	v_add_co_u32 v12, vcc_lo, s18, v14
	v_add_co_ci_u32_e32 v13, vcc_lo, s19, v15, vcc_lo
	v_add_co_u32 v14, vcc_lo, s16, v14
	v_cmp_lt_i64_e64 s1, v[8:9], v[6:7]
	v_add_co_ci_u32_e32 v15, vcc_lo, s17, v15, vcc_lo
	s_waitcnt lgkmcnt(0)
	s_mul_i32 s2, s9, s3
	s_mul_hi_u32 s40, s8, s3
	s_mul_i32 s58, s8, s3
	s_add_i32 s57, s40, s2
	s_mov_b64 s[40:41], s[14:15]
	s_branch .LBB18_30
.LBB18_29:                              ;   in Loop: Header=BB18_30 Depth=2
	s_add_u32 s40, s40, s3
	s_addc_u32 s41, s41, 0
	v_add_co_u32 v12, vcc_lo, v12, s58
	v_cmp_ge_i64_e64 s2, s[40:41], s[20:21]
	v_add_co_ci_u32_e32 v13, vcc_lo, s57, v13, vcc_lo
	v_add_co_u32 v14, vcc_lo, v14, s58
	v_add_co_ci_u32_e32 v15, vcc_lo, s57, v15, vcc_lo
	s_delay_alu instid0(VALU_DEP_4)
	s_and_b32 vcc_lo, exec_lo, s2
	s_cbranch_vccnz .LBB18_2
.LBB18_30:                              ;   Parent Loop BB18_3 Depth=1
                                        ; =>  This Loop Header: Depth=2
                                        ;       Child Loop BB18_34 Depth 3
                                        ;         Child Loop BB18_38 Depth 4
                                        ;           Child Loop BB18_41 Depth 5
	s_and_not1_b32 vcc_lo, exec_lo, s44
	s_cbranch_vccnz .LBB18_29
; %bb.31:                               ;   in Loop: Header=BB18_30 Depth=2
	s_load_b32 s59, s[34:35], 0x8
	s_mul_i32 s2, s40, s23
	s_mul_hi_u32 s42, s40, s22
	s_mul_i32 s43, s41, s22
	s_add_i32 s2, s42, s2
	v_dual_mov_b32 v17, v15 :: v_dual_mov_b32 v16, v14
	v_dual_mov_b32 v19, v13 :: v_dual_mov_b32 v18, v12
	s_add_i32 s61, s2, s43
	s_mul_i32 s60, s40, s22
	s_waitcnt lgkmcnt(0)
	s_mul_i32 s2, s11, s59
	s_mul_hi_u32 s42, s10, s59
	s_mul_i32 s62, s10, s59
	s_add_i32 s63, s42, s2
	s_mov_b64 s[42:43], s[12:13]
	s_branch .LBB18_34
.LBB18_32:                              ;   in Loop: Header=BB18_34 Depth=3
	s_or_b32 exec_lo, exec_lo, s65
.LBB18_33:                              ;   in Loop: Header=BB18_34 Depth=3
	s_delay_alu instid0(SALU_CYCLE_1)
	s_or_b32 exec_lo, exec_lo, s64
	s_add_u32 s2, s42, s60
	s_addc_u32 s64, s43, s61
	s_mul_hi_u32 s65, s24, s2
	s_mul_i32 s64, s24, s64
	s_mul_i32 s66, s25, s2
	s_add_i32 s65, s65, s64
	s_mul_i32 s64, s24, s2
	s_add_i32 s65, s65, s66
	s_delay_alu instid0(SALU_CYCLE_1)
	s_lshl_b64 s[64:65], s[64:65], 3
	s_add_u32 s42, s42, s59
	v_add_co_u32 v22, vcc_lo, v3, s64
	v_add_co_ci_u32_e32 v23, vcc_lo, s65, v35, vcc_lo
	s_addc_u32 s43, s43, 0
	v_add_co_u32 v18, vcc_lo, v18, s62
	v_cmp_ge_i64_e64 s2, s[42:43], s[22:23]
	v_add_co_ci_u32_e32 v19, vcc_lo, s63, v19, vcc_lo
	v_add_co_u32 v16, vcc_lo, v16, s62
	v_add_co_ci_u32_e32 v17, vcc_lo, s63, v17, vcc_lo
	s_delay_alu instid0(VALU_DEP_4)
	s_and_b32 vcc_lo, exec_lo, s2
	global_store_b64 v[22:23], v[20:21], off
	s_cbranch_vccnz .LBB18_29
.LBB18_34:                              ;   Parent Loop BB18_3 Depth=1
                                        ;     Parent Loop BB18_30 Depth=2
                                        ; =>    This Loop Header: Depth=3
                                        ;         Child Loop BB18_38 Depth 4
                                        ;           Child Loop BB18_41 Depth 5
	v_mov_b32_e32 v20, 0
	v_mov_b32_e32 v21, 0
	s_and_saveexec_b32 s64, s0
	s_cbranch_execz .LBB18_33
; %bb.35:                               ;   in Loop: Header=BB18_34 Depth=3
	v_dual_mov_b32 v20, 0 :: v_dual_mov_b32 v23, v17
	v_dual_mov_b32 v21, 0 :: v_dual_mov_b32 v22, v16
	;; [unrolled: 1-line block ×4, first 2 shown]
	s_mov_b32 s65, 0
	s_branch .LBB18_38
.LBB18_36:                              ;   in Loop: Header=BB18_38 Depth=4
	s_set_inst_prefetch_distance 0x2
	s_or_b32 exec_lo, exec_lo, s67
.LBB18_37:                              ;   in Loop: Header=BB18_38 Depth=4
	s_delay_alu instid0(SALU_CYCLE_1) | instskip(SKIP_4) | instid1(VALU_DEP_3)
	s_or_b32 exec_lo, exec_lo, s66
	v_add_co_u32 v26, vcc_lo, v26, 1
	v_add_co_ci_u32_e32 v27, vcc_lo, 0, v27, vcc_lo
	v_add_co_u32 v24, vcc_lo, v24, s38
	v_add_co_ci_u32_e32 v25, vcc_lo, s39, v25, vcc_lo
	v_cmp_ge_i64_e32 vcc_lo, v[26:27], v[10:11]
	v_add_co_u32 v22, s2, v22, s38
	s_delay_alu instid0(VALU_DEP_1) | instskip(SKIP_1) | instid1(SALU_CYCLE_1)
	v_add_co_ci_u32_e64 v23, s2, s39, v23, s2
	s_or_b32 s65, vcc_lo, s65
	s_and_not1_b32 exec_lo, exec_lo, s65
	s_cbranch_execz .LBB18_32
.LBB18_38:                              ;   Parent Loop BB18_3 Depth=1
                                        ;     Parent Loop BB18_30 Depth=2
                                        ;       Parent Loop BB18_34 Depth=3
                                        ; =>      This Loop Header: Depth=4
                                        ;           Child Loop BB18_41 Depth 5
	s_and_saveexec_b32 s66, s1
	s_cbranch_execz .LBB18_37
; %bb.39:                               ;   in Loop: Header=BB18_38 Depth=4
	v_dual_mov_b32 v29, v23 :: v_dual_mov_b32 v28, v22
	v_dual_mov_b32 v31, v25 :: v_dual_mov_b32 v30, v24
	;; [unrolled: 1-line block ×3, first 2 shown]
	s_mov_b32 s67, 0
	s_set_inst_prefetch_distance 0x1
	s_branch .LBB18_41
	.p2align	6
.LBB18_40:                              ;   in Loop: Header=BB18_41 Depth=5
	s_or_b32 exec_lo, exec_lo, s2
	v_add_co_u32 v32, vcc_lo, v32, 1
	v_add_co_ci_u32_e32 v33, vcc_lo, 0, v33, vcc_lo
	v_add_co_u32 v30, vcc_lo, v30, 8
	v_add_co_ci_u32_e32 v31, vcc_lo, 0, v31, vcc_lo
	s_delay_alu instid0(VALU_DEP_3) | instskip(SKIP_1) | instid1(VALU_DEP_1)
	v_cmp_ge_i64_e32 vcc_lo, v[32:33], v[6:7]
	v_add_co_u32 v28, s2, v28, 8
	v_add_co_ci_u32_e64 v29, s2, 0, v29, s2
	s_or_b32 s67, vcc_lo, s67
	s_delay_alu instid0(SALU_CYCLE_1)
	s_and_not1_b32 exec_lo, exec_lo, s67
	s_cbranch_execz .LBB18_36
.LBB18_41:                              ;   Parent Loop BB18_3 Depth=1
                                        ;     Parent Loop BB18_30 Depth=2
                                        ;       Parent Loop BB18_34 Depth=3
                                        ;         Parent Loop BB18_38 Depth=4
                                        ; =>        This Inner Loop Header: Depth=5
	global_load_b64 v[36:37], v[30:31], off
	s_mov_b32 s2, exec_lo
	s_waitcnt vmcnt(0)
	v_cmpx_eq_u64_e64 v[36:37], v[4:5]
	s_cbranch_execz .LBB18_40
; %bb.42:                               ;   in Loop: Header=BB18_41 Depth=5
	global_load_b64 v[36:37], v[28:29], off
	s_waitcnt vmcnt(0)
	v_add_f64 v[20:21], v[20:21], v[36:37]
	s_branch .LBB18_40
.LBB18_43:
	s_nop 0
	s_sendmsg sendmsg(MSG_DEALLOC_VGPRS)
	s_endpgm
	.section	.rodata,"a",@progbits
	.p2align	6, 0x0
	.amdhsa_kernel _ZN2at6native12_GLOBAL__N_122max_pool_backward_nchwIddlEEvPKT_PKlT1_S8_S8_S8_S8_S8_iiiiiiiiPS3_
		.amdhsa_group_segment_fixed_size 0
		.amdhsa_private_segment_fixed_size 0
		.amdhsa_kernarg_size 360
		.amdhsa_user_sgpr_count 13
		.amdhsa_user_sgpr_dispatch_ptr 0
		.amdhsa_user_sgpr_queue_ptr 0
		.amdhsa_user_sgpr_kernarg_segment_ptr 1
		.amdhsa_user_sgpr_dispatch_id 0
		.amdhsa_user_sgpr_private_segment_size 0
		.amdhsa_wavefront_size32 1
		.amdhsa_uses_dynamic_stack 0
		.amdhsa_enable_private_segment 0
		.amdhsa_system_sgpr_workgroup_id_x 1
		.amdhsa_system_sgpr_workgroup_id_y 1
		.amdhsa_system_sgpr_workgroup_id_z 1
		.amdhsa_system_sgpr_workgroup_info 0
		.amdhsa_system_vgpr_workitem_id 0
		.amdhsa_next_free_vgpr 38
		.amdhsa_next_free_sgpr 68
		.amdhsa_reserve_vcc 1
		.amdhsa_float_round_mode_32 0
		.amdhsa_float_round_mode_16_64 0
		.amdhsa_float_denorm_mode_32 3
		.amdhsa_float_denorm_mode_16_64 3
		.amdhsa_dx10_clamp 1
		.amdhsa_ieee_mode 1
		.amdhsa_fp16_overflow 0
		.amdhsa_workgroup_processor_mode 1
		.amdhsa_memory_ordered 1
		.amdhsa_forward_progress 0
		.amdhsa_shared_vgpr_count 0
		.amdhsa_exception_fp_ieee_invalid_op 0
		.amdhsa_exception_fp_denorm_src 0
		.amdhsa_exception_fp_ieee_div_zero 0
		.amdhsa_exception_fp_ieee_overflow 0
		.amdhsa_exception_fp_ieee_underflow 0
		.amdhsa_exception_fp_ieee_inexact 0
		.amdhsa_exception_int_div_zero 0
	.end_amdhsa_kernel
	.section	.text._ZN2at6native12_GLOBAL__N_122max_pool_backward_nchwIddlEEvPKT_PKlT1_S8_S8_S8_S8_S8_iiiiiiiiPS3_,"axG",@progbits,_ZN2at6native12_GLOBAL__N_122max_pool_backward_nchwIddlEEvPKT_PKlT1_S8_S8_S8_S8_S8_iiiiiiiiPS3_,comdat
.Lfunc_end18:
	.size	_ZN2at6native12_GLOBAL__N_122max_pool_backward_nchwIddlEEvPKT_PKlT1_S8_S8_S8_S8_S8_iiiiiiiiPS3_, .Lfunc_end18-_ZN2at6native12_GLOBAL__N_122max_pool_backward_nchwIddlEEvPKT_PKlT1_S8_S8_S8_S8_S8_iiiiiiiiPS3_
                                        ; -- End function
	.section	.AMDGPU.csdata,"",@progbits
; Kernel info:
; codeLenInByte = 6380
; NumSgprs: 70
; NumVgprs: 38
; ScratchSize: 0
; MemoryBound: 1
; FloatMode: 240
; IeeeMode: 1
; LDSByteSize: 0 bytes/workgroup (compile time only)
; SGPRBlocks: 8
; VGPRBlocks: 4
; NumSGPRsForWavesPerEU: 70
; NumVGPRsForWavesPerEU: 38
; Occupancy: 16
; WaveLimiterHint : 0
; COMPUTE_PGM_RSRC2:SCRATCH_EN: 0
; COMPUTE_PGM_RSRC2:USER_SGPR: 13
; COMPUTE_PGM_RSRC2:TRAP_HANDLER: 0
; COMPUTE_PGM_RSRC2:TGID_X_EN: 1
; COMPUTE_PGM_RSRC2:TGID_Y_EN: 1
; COMPUTE_PGM_RSRC2:TGID_Z_EN: 1
; COMPUTE_PGM_RSRC2:TIDIG_COMP_CNT: 0
	.section	.text._ZN2at6native12_GLOBAL__N_122max_pool_backward_nhwcIffEEvPKT_PKlillliiiiiiiiiiiiiiiPS3_,"axG",@progbits,_ZN2at6native12_GLOBAL__N_122max_pool_backward_nhwcIffEEvPKT_PKlillliiiiiiiiiiiiiiiPS3_,comdat
	.globl	_ZN2at6native12_GLOBAL__N_122max_pool_backward_nhwcIffEEvPKT_PKlillliiiiiiiiiiiiiiiPS3_ ; -- Begin function _ZN2at6native12_GLOBAL__N_122max_pool_backward_nhwcIffEEvPKT_PKlillliiiiiiiiiiiiiiiPS3_
	.p2align	8
	.type	_ZN2at6native12_GLOBAL__N_122max_pool_backward_nhwcIffEEvPKT_PKlillliiiiiiiiiiiiiiiPS3_,@function
_ZN2at6native12_GLOBAL__N_122max_pool_backward_nhwcIffEEvPKT_PKlillliiiiiiiiiiiiiiiPS3_: ; @_ZN2at6native12_GLOBAL__N_122max_pool_backward_nhwcIffEEvPKT_PKlillliiiiiiiiiiiiiiiPS3_
; %bb.0:
	s_clause 0x3
	s_load_b32 s33, s[0:1], 0x10
	s_load_b128 s[28:31], s[0:1], 0x7c
	s_load_b256 s[4:11], s[0:1], 0x50
	s_load_b256 s[16:23], s[0:1], 0x30
	v_bfe_u32 v3, v0, 10, 10
	v_bfe_u32 v2, v0, 20, 10
	v_and_b32_e32 v6, 0x3ff, v0
	s_waitcnt lgkmcnt(0)
	v_cvt_f32_u32_e32 v1, s33
	s_lshr_b32 s11, s30, 16
	s_and_b32 s35, s30, 0xffff
	v_mad_u32_u24 v9, v2, s11, v3
	s_sub_i32 s24, 0, s33
	v_rcp_iflag_f32_e32 v1, v1
	s_mul_i32 s2, s35, s10
	s_and_b32 s12, s31, 0xffff
	s_mul_i32 s2, s2, s11
	s_delay_alu instid0(SALU_CYCLE_1) | instskip(SKIP_2) | instid1(VALU_DEP_1)
	s_mul_i32 s2, s2, s12
	s_waitcnt_depctr 0xfff
	v_mul_f32_e32 v1, 0x4f7ffffe, v1
	v_cvt_u32_f32_e32 v4, v1
	v_mad_u64_u32 v[0:1], null, v9, s35, v[6:7]
	s_delay_alu instid0(VALU_DEP_2) | instskip(NEXT) | instid1(VALU_DEP_1)
	v_readfirstlane_b32 s3, v4
	s_mul_i32 s24, s24, s3
	s_delay_alu instid0(SALU_CYCLE_1) | instskip(NEXT) | instid1(SALU_CYCLE_1)
	s_mul_hi_u32 s24, s3, s24
	s_add_i32 s24, s3, s24
	s_mov_b32 s3, 0
	s_mul_hi_u32 s34, s13, s24
	s_mov_b32 s24, exec_lo
	v_cmpx_gt_u32_e64 s2, v0
	s_cbranch_execz .LBB19_3
; %bb.1:
	s_mul_i32 s25, s11, s35
	v_lshl_add_u32 v1, v0, 2, 0
	v_mov_b32_e32 v4, 0
	s_mul_i32 s25, s25, s12
	s_delay_alu instid0(SALU_CYCLE_1)
	s_lshl_b32 s26, s25, 2
.LBB19_2:                               ; =>This Inner Loop Header: Depth=1
	v_add_nc_u32_e32 v0, s25, v0
	ds_store_b32 v1, v4
	v_add_nc_u32_e32 v1, s26, v1
	v_cmp_le_u32_e32 vcc_lo, s2, v0
	s_or_b32 s3, vcc_lo, s3
	s_delay_alu instid0(SALU_CYCLE_1)
	s_and_not1_b32 exec_lo, exec_lo, s3
	s_cbranch_execnz .LBB19_2
.LBB19_3:
	s_or_b32 exec_lo, exec_lo, s24
	s_clause 0x1
	s_load_b128 s[24:27], s[0:1], 0x18
	s_load_b64 s[30:31], s[0:1], 0x28
	v_cvt_f32_ubyte0_e32 v0, 0
	s_mov_b32 s2, 0
	s_waitcnt lgkmcnt(0)
	s_barrier
	buffer_gl0_inv
	s_add_u32 s3, s26, s29
	s_addc_u32 s37, s27, 0
	s_add_u32 s36, s3, -1
	s_addc_u32 s3, s37, -1
	s_delay_alu instid0(SALU_CYCLE_1)
	s_cmp_lg_u64 s[2:3], 0
	s_cbranch_scc0 .LBB19_60
; %bb.4:
	v_cvt_f32_u32_e32 v1, s29
	s_sub_u32 s39, 0, s29
	s_subb_u32 s40, 0, 0
	s_delay_alu instid0(VALU_DEP_1) | instskip(NEXT) | instid1(VALU_DEP_1)
	v_fmamk_f32 v1, v0, 0x4f800000, v1
	v_rcp_f32_e32 v1, v1
	s_waitcnt_depctr 0xfff
	v_mul_f32_e32 v1, 0x5f7ffffc, v1
	s_delay_alu instid0(VALU_DEP_1) | instskip(NEXT) | instid1(VALU_DEP_1)
	v_mul_f32_e32 v4, 0x2f800000, v1
	v_trunc_f32_e32 v4, v4
	s_delay_alu instid0(VALU_DEP_1) | instskip(SKIP_1) | instid1(VALU_DEP_2)
	v_fmamk_f32 v1, v4, 0xcf800000, v1
	v_cvt_u32_f32_e32 v4, v4
	v_cvt_u32_f32_e32 v1, v1
	s_delay_alu instid0(VALU_DEP_2) | instskip(NEXT) | instid1(VALU_DEP_2)
	v_readfirstlane_b32 s37, v4
	v_readfirstlane_b32 s38, v1
	s_delay_alu instid0(VALU_DEP_2) | instskip(NEXT) | instid1(VALU_DEP_1)
	s_mul_i32 s41, s39, s37
	s_mul_hi_u32 s43, s39, s38
	s_mul_i32 s42, s40, s38
	s_add_i32 s41, s43, s41
	s_mul_i32 s44, s39, s38
	s_add_i32 s41, s41, s42
	s_mul_hi_u32 s43, s38, s44
	s_mul_hi_u32 s45, s37, s44
	s_mul_i32 s42, s37, s44
	s_mul_hi_u32 s44, s38, s41
	s_mul_i32 s38, s38, s41
	s_mul_hi_u32 s46, s37, s41
	s_add_u32 s38, s43, s38
	s_addc_u32 s43, 0, s44
	s_add_u32 s38, s38, s42
	s_mul_i32 s41, s37, s41
	s_addc_u32 s38, s43, s45
	s_addc_u32 s42, s46, 0
	s_add_u32 s38, s38, s41
	s_addc_u32 s41, 0, s42
	v_add_co_u32 v1, s38, v1, s38
	s_delay_alu instid0(VALU_DEP_1) | instskip(SKIP_1) | instid1(VALU_DEP_1)
	s_cmp_lg_u32 s38, 0
	s_addc_u32 s37, s37, s41
	v_readfirstlane_b32 s38, v1
	s_mul_i32 s41, s39, s37
	s_delay_alu instid0(VALU_DEP_1)
	s_mul_hi_u32 s42, s39, s38
	s_mul_i32 s40, s40, s38
	s_add_i32 s41, s42, s41
	s_mul_i32 s39, s39, s38
	s_add_i32 s41, s41, s40
	s_mul_hi_u32 s42, s37, s39
	s_mul_i32 s43, s37, s39
	s_mul_hi_u32 s39, s38, s39
	s_mul_hi_u32 s44, s38, s41
	s_mul_i32 s38, s38, s41
	s_mul_hi_u32 s40, s37, s41
	s_add_u32 s38, s39, s38
	s_addc_u32 s39, 0, s44
	s_add_u32 s38, s38, s43
	s_mul_i32 s41, s37, s41
	s_addc_u32 s38, s39, s42
	s_addc_u32 s39, s40, 0
	s_add_u32 s38, s38, s41
	s_addc_u32 s39, 0, s39
	v_add_co_u32 v1, s38, v1, s38
	s_delay_alu instid0(VALU_DEP_1) | instskip(SKIP_2) | instid1(SALU_CYCLE_1)
	s_cmp_lg_u32 s38, 0
	s_addc_u32 s37, s37, s39
	s_ashr_i32 s38, s3, 31
	s_add_u32 s40, s36, s38
	s_addc_u32 s41, s3, s38
	v_readfirstlane_b32 s3, v1
	s_mov_b32 s39, s38
	s_delay_alu instid0(SALU_CYCLE_1) | instskip(NEXT) | instid1(SALU_CYCLE_1)
	s_xor_b64 s[40:41], s[40:41], s[38:39]
	s_mul_i32 s42, s40, s37
	s_delay_alu instid0(VALU_DEP_1)
	s_mul_hi_u32 s43, s40, s3
	s_mul_hi_u32 s39, s40, s37
	;; [unrolled: 1-line block ×3, first 2 shown]
	s_mul_i32 s3, s41, s3
	s_add_u32 s42, s43, s42
	s_addc_u32 s39, 0, s39
	s_mul_hi_u32 s44, s41, s37
	s_add_u32 s3, s42, s3
	s_mul_i32 s37, s41, s37
	s_addc_u32 s3, s39, s45
	s_addc_u32 s39, s44, 0
	s_add_u32 s3, s3, s37
	s_addc_u32 s37, 0, s39
	s_mul_i32 s43, s29, s3
	s_mul_hi_u32 s42, s29, s3
	v_sub_co_u32 v1, s40, s40, s43
	s_mul_i32 s37, s29, s37
	s_add_u32 s39, s3, 1
	s_add_i32 s42, s42, s37
	s_delay_alu instid0(VALU_DEP_1) | instskip(SKIP_3) | instid1(VALU_DEP_2)
	v_sub_co_u32 v4, s37, v1, s29
	s_add_u32 s43, s3, 2
	s_cmp_lg_u32 s40, 0
	v_mov_b32_e32 v5, s43
	v_cmp_le_u32_e32 vcc_lo, s29, v4
	s_subb_u32 s40, s41, s42
	s_cmp_lg_u32 s37, 0
	s_subb_u32 s37, s40, 0
	v_cndmask_b32_e64 v4, 0, -1, vcc_lo
	v_cmp_le_u32_e32 vcc_lo, s29, v1
	s_cmp_eq_u32 s37, 0
	v_cndmask_b32_e64 v1, 0, -1, vcc_lo
	s_cselect_b32 vcc_lo, -1, 0
	s_cmp_eq_u32 s40, 0
	v_cndmask_b32_e32 v4, -1, v4, vcc_lo
	s_cselect_b32 vcc_lo, -1, 0
	v_cndmask_b32_e32 v1, -1, v1, vcc_lo
	s_delay_alu instid0(VALU_DEP_2) | instskip(SKIP_1) | instid1(VALU_DEP_3)
	v_cmp_ne_u32_e32 vcc_lo, 0, v4
	v_cndmask_b32_e32 v4, s39, v5, vcc_lo
	v_cmp_ne_u32_e32 vcc_lo, 0, v1
	s_delay_alu instid0(VALU_DEP_2) | instskip(NEXT) | instid1(VALU_DEP_1)
	v_cndmask_b32_e32 v1, s3, v4, vcc_lo
	v_xor_b32_e32 v1, s38, v1
	s_delay_alu instid0(VALU_DEP_1)
	v_sub_co_u32 v4, vcc_lo, v1, s38
	s_and_not1_b32 vcc_lo, exec_lo, s2
	s_cbranch_vccnz .LBB19_6
.LBB19_5:
	v_cvt_f32_u32_e32 v1, s29
	s_sub_i32 s3, 0, s29
	s_delay_alu instid0(VALU_DEP_1) | instskip(SKIP_2) | instid1(VALU_DEP_1)
	v_rcp_iflag_f32_e32 v1, v1
	s_waitcnt_depctr 0xfff
	v_mul_f32_e32 v1, 0x4f7ffffe, v1
	v_cvt_u32_f32_e32 v1, v1
	s_delay_alu instid0(VALU_DEP_1) | instskip(NEXT) | instid1(VALU_DEP_1)
	v_readfirstlane_b32 s2, v1
	s_mul_i32 s3, s3, s2
	s_delay_alu instid0(SALU_CYCLE_1) | instskip(NEXT) | instid1(SALU_CYCLE_1)
	s_mul_hi_u32 s3, s2, s3
	s_add_i32 s2, s2, s3
	s_delay_alu instid0(SALU_CYCLE_1) | instskip(NEXT) | instid1(SALU_CYCLE_1)
	s_mul_hi_u32 s2, s36, s2
	s_mul_i32 s3, s2, s29
	s_delay_alu instid0(SALU_CYCLE_1)
	s_sub_i32 s3, s36, s3
	s_add_i32 s36, s2, 1
	s_sub_i32 s37, s3, s29
	s_cmp_ge_u32 s3, s29
	s_cselect_b32 s2, s36, s2
	s_cselect_b32 s3, s37, s3
	s_add_i32 s36, s2, 1
	s_cmp_ge_u32 s3, s29
	s_mov_b32 s3, 0
	s_cselect_b32 s2, s36, s2
	s_delay_alu instid0(SALU_CYCLE_1)
	v_dual_mov_b32 v5, s3 :: v_dual_mov_b32 v4, s2
.LBB19_6:
	s_add_u32 s3, s30, s28
	s_addc_u32 s36, s31, 0
	s_add_u32 s29, s3, -1
	s_mov_b32 s2, 0
	s_addc_u32 s3, s36, -1
	s_delay_alu instid0(SALU_CYCLE_1)
	s_cmp_lg_u64 s[2:3], 0
	s_cbranch_scc0 .LBB19_61
; %bb.7:
	v_cvt_f32_u32_e32 v1, s28
	s_sub_u32 s38, 0, s28
	s_subb_u32 s39, 0, 0
	s_delay_alu instid0(VALU_DEP_1) | instskip(NEXT) | instid1(VALU_DEP_1)
	v_fmamk_f32 v0, v0, 0x4f800000, v1
	v_rcp_f32_e32 v0, v0
	s_waitcnt_depctr 0xfff
	v_mul_f32_e32 v0, 0x5f7ffffc, v0
	s_delay_alu instid0(VALU_DEP_1) | instskip(NEXT) | instid1(VALU_DEP_1)
	v_mul_f32_e32 v1, 0x2f800000, v0
	v_trunc_f32_e32 v1, v1
	s_delay_alu instid0(VALU_DEP_1) | instskip(SKIP_1) | instid1(VALU_DEP_2)
	v_fmamk_f32 v0, v1, 0xcf800000, v0
	v_cvt_u32_f32_e32 v1, v1
	v_cvt_u32_f32_e32 v0, v0
	s_delay_alu instid0(VALU_DEP_2) | instskip(NEXT) | instid1(VALU_DEP_2)
	v_readfirstlane_b32 s36, v1
	v_readfirstlane_b32 s37, v0
	s_delay_alu instid0(VALU_DEP_2) | instskip(NEXT) | instid1(VALU_DEP_1)
	s_mul_i32 s40, s38, s36
	s_mul_hi_u32 s42, s38, s37
	s_mul_i32 s41, s39, s37
	s_add_i32 s40, s42, s40
	s_mul_i32 s43, s38, s37
	s_add_i32 s40, s40, s41
	s_mul_hi_u32 s42, s37, s43
	s_mul_hi_u32 s44, s36, s43
	s_mul_i32 s41, s36, s43
	s_mul_hi_u32 s43, s37, s40
	s_mul_i32 s37, s37, s40
	s_mul_hi_u32 s45, s36, s40
	s_add_u32 s37, s42, s37
	s_addc_u32 s42, 0, s43
	s_add_u32 s37, s37, s41
	s_mul_i32 s40, s36, s40
	s_addc_u32 s37, s42, s44
	s_addc_u32 s41, s45, 0
	s_add_u32 s37, s37, s40
	s_addc_u32 s40, 0, s41
	v_add_co_u32 v0, s37, v0, s37
	s_delay_alu instid0(VALU_DEP_1) | instskip(SKIP_1) | instid1(VALU_DEP_1)
	s_cmp_lg_u32 s37, 0
	s_addc_u32 s36, s36, s40
	v_readfirstlane_b32 s37, v0
	s_mul_i32 s40, s38, s36
	s_delay_alu instid0(VALU_DEP_1)
	s_mul_hi_u32 s41, s38, s37
	s_mul_i32 s39, s39, s37
	s_add_i32 s40, s41, s40
	s_mul_i32 s38, s38, s37
	s_add_i32 s40, s40, s39
	s_mul_hi_u32 s41, s36, s38
	s_mul_i32 s42, s36, s38
	s_mul_hi_u32 s38, s37, s38
	s_mul_hi_u32 s43, s37, s40
	s_mul_i32 s37, s37, s40
	s_mul_hi_u32 s39, s36, s40
	s_add_u32 s37, s38, s37
	s_addc_u32 s38, 0, s43
	s_add_u32 s37, s37, s42
	s_mul_i32 s40, s36, s40
	s_addc_u32 s37, s38, s41
	s_addc_u32 s38, s39, 0
	s_add_u32 s37, s37, s40
	s_addc_u32 s38, 0, s38
	v_add_co_u32 v0, s37, v0, s37
	s_delay_alu instid0(VALU_DEP_1) | instskip(SKIP_2) | instid1(SALU_CYCLE_1)
	s_cmp_lg_u32 s37, 0
	s_addc_u32 s40, s36, s38
	s_ashr_i32 s36, s3, 31
	s_add_u32 s38, s29, s36
	s_addc_u32 s39, s3, s36
	v_readfirstlane_b32 s3, v0
	s_mov_b32 s37, s36
	s_delay_alu instid0(SALU_CYCLE_1) | instskip(NEXT) | instid1(SALU_CYCLE_1)
	s_xor_b64 s[38:39], s[38:39], s[36:37]
	s_mul_i32 s41, s38, s40
	s_delay_alu instid0(VALU_DEP_1)
	s_mul_hi_u32 s42, s38, s3
	s_mul_hi_u32 s37, s38, s40
	;; [unrolled: 1-line block ×3, first 2 shown]
	s_mul_i32 s3, s39, s3
	s_add_u32 s41, s42, s41
	s_addc_u32 s37, 0, s37
	s_mul_hi_u32 s43, s39, s40
	s_add_u32 s3, s41, s3
	s_mul_i32 s40, s39, s40
	s_addc_u32 s3, s37, s44
	s_addc_u32 s37, s43, 0
	s_add_u32 s3, s3, s40
	s_addc_u32 s37, 0, s37
	s_mul_i32 s42, s28, s3
	s_mul_hi_u32 s41, s28, s3
	v_sub_co_u32 v0, s38, s38, s42
	s_mul_i32 s37, s28, s37
	s_add_u32 s40, s3, 1
	s_add_i32 s41, s41, s37
	s_delay_alu instid0(VALU_DEP_1) | instskip(SKIP_3) | instid1(VALU_DEP_2)
	v_sub_co_u32 v1, s37, v0, s28
	s_add_u32 s42, s3, 2
	s_cmp_lg_u32 s38, 0
	v_mov_b32_e32 v5, s42
	v_cmp_le_u32_e32 vcc_lo, s28, v1
	s_subb_u32 s38, s39, s41
	s_cmp_lg_u32 s37, 0
	s_subb_u32 s37, s38, 0
	v_cndmask_b32_e64 v1, 0, -1, vcc_lo
	v_cmp_le_u32_e32 vcc_lo, s28, v0
	s_cmp_eq_u32 s37, 0
	v_cndmask_b32_e64 v0, 0, -1, vcc_lo
	s_cselect_b32 vcc_lo, -1, 0
	s_cmp_eq_u32 s38, 0
	v_cndmask_b32_e32 v1, -1, v1, vcc_lo
	s_cselect_b32 vcc_lo, -1, 0
	v_cndmask_b32_e32 v0, -1, v0, vcc_lo
	s_delay_alu instid0(VALU_DEP_2) | instskip(SKIP_1) | instid1(VALU_DEP_3)
	v_cmp_ne_u32_e32 vcc_lo, 0, v1
	v_cndmask_b32_e32 v1, s40, v5, vcc_lo
	v_cmp_ne_u32_e32 vcc_lo, 0, v0
	s_delay_alu instid0(VALU_DEP_2) | instskip(NEXT) | instid1(VALU_DEP_1)
	v_cndmask_b32_e32 v0, s3, v1, vcc_lo
	v_xor_b32_e32 v0, s36, v0
	s_delay_alu instid0(VALU_DEP_1)
	v_sub_co_u32 v7, vcc_lo, v0, s36
	s_and_not1_b32 vcc_lo, exec_lo, s2
	s_cbranch_vccnz .LBB19_9
.LBB19_8:
	v_cvt_f32_u32_e32 v0, s28
	s_sub_i32 s3, 0, s28
	s_delay_alu instid0(VALU_DEP_1) | instskip(SKIP_2) | instid1(VALU_DEP_1)
	v_rcp_iflag_f32_e32 v0, v0
	s_waitcnt_depctr 0xfff
	v_mul_f32_e32 v0, 0x4f7ffffe, v0
	v_cvt_u32_f32_e32 v0, v0
	s_delay_alu instid0(VALU_DEP_1) | instskip(NEXT) | instid1(VALU_DEP_1)
	v_readfirstlane_b32 s2, v0
	s_mul_i32 s3, s3, s2
	s_delay_alu instid0(SALU_CYCLE_1) | instskip(NEXT) | instid1(SALU_CYCLE_1)
	s_mul_hi_u32 s3, s2, s3
	s_add_i32 s2, s2, s3
	s_delay_alu instid0(SALU_CYCLE_1) | instskip(NEXT) | instid1(SALU_CYCLE_1)
	s_mul_hi_u32 s2, s29, s2
	s_mul_i32 s3, s2, s28
	s_delay_alu instid0(SALU_CYCLE_1)
	s_sub_i32 s3, s29, s3
	s_add_i32 s29, s2, 1
	s_sub_i32 s36, s3, s28
	s_cmp_ge_u32 s3, s28
	s_cselect_b32 s2, s29, s2
	s_cselect_b32 s3, s36, s3
	s_add_i32 s29, s2, 1
	s_cmp_ge_u32 s3, s28
	s_mov_b32 s3, 0
	s_cselect_b32 s2, s29, s2
	s_delay_alu instid0(SALU_CYCLE_1)
	v_dual_mov_b32 v8, s3 :: v_dual_mov_b32 v7, s2
.LBB19_9:
	v_mad_u64_u32 v[0:1], null, s15, v4, v[2:3]
	v_ashrrev_i32_e32 v2, 31, v4
	s_mov_b32 s2, exec_lo
	s_delay_alu instid0(VALU_DEP_2) | instskip(SKIP_1) | instid1(VALU_DEP_2)
	v_ashrrev_i32_e32 v5, 31, v0
	v_add_co_u32 v1, vcc_lo, v4, v0
	v_add_co_ci_u32_e32 v2, vcc_lo, v2, v5, vcc_lo
	s_delay_alu instid0(VALU_DEP_1) | instskip(SKIP_1) | instid1(VALU_DEP_1)
	v_cmp_gt_i64_e32 vcc_lo, s[26:27], v[1:2]
	v_cndmask_b32_e32 v19, s26, v1, vcc_lo
	v_cmpx_lt_i32_e64 v0, v19
	s_cbranch_execz .LBB19_59
; %bb.10:
	s_mul_i32 s2, s34, s33
	s_add_i32 s3, s34, 1
	s_sub_i32 s2, s13, s2
	s_load_b64 s[28:29], s[0:1], 0x70
	s_sub_i32 s15, s2, s33
	s_cmp_ge_u32 s2, s33
	s_mul_i32 s36, s26, s25
	s_cselect_b32 s3, s3, s34
	s_cselect_b32 s2, s15, s2
	s_add_i32 s15, s3, 1
	s_cmp_ge_u32 s2, s33
	s_mul_hi_u32 s2, s26, s24
	s_cselect_b32 s37, s15, s3
	s_mul_i32 s3, s27, s24
	s_mul_i32 s15, s37, s33
	;; [unrolled: 1-line block ×3, first 2 shown]
	s_add_i32 s2, s2, s36
	s_sub_i32 s15, s13, s15
	s_mul_i32 s27, s26, s31
	s_mul_hi_u32 s33, s26, s30
	s_add_i32 s2, s2, s3
	s_ashr_i32 s13, s15, 31
	s_add_i32 s3, s33, s27
	s_mul_i32 s2, s2, s30
	s_mul_i32 s26, s26, s30
	s_add_i32 s2, s3, s2
	s_mul_i32 s3, s26, s13
	s_mul_hi_u32 s13, s26, s15
	s_mul_i32 s27, s2, s15
	s_add_i32 s13, s13, s3
	s_load_b128 s[0:3], s[0:1], 0x0
	s_add_i32 s27, s13, s27
	s_mul_i32 s26, s26, s15
	s_mul_i32 s33, s17, s16
	s_lshl_b64 s[26:27], s[26:27], 2
	v_mad_u64_u32 v[1:2], null, s14, v7, v[3:4]
	s_waitcnt lgkmcnt(0)
	s_add_u32 s13, s28, s26
	s_mul_i32 s26, s33, s15
	s_addc_u32 s15, s29, s27
	s_mul_i32 s27, s26, s25
	s_mul_hi_u32 s28, s26, s24
	s_ashr_i32 s29, s26, 31
	s_add_i32 s27, s28, s27
	s_mul_i32 s29, s29, s24
	s_mul_i32 s28, s26, s24
	s_add_i32 s29, s27, s29
	v_ashrrev_i32_e32 v4, 31, v1
	s_lshl_b64 s[26:27], s[28:29], 3
	v_ashrrev_i32_e32 v5, 31, v7
	s_add_u32 s26, s2, s26
	s_addc_u32 s27, s3, s27
	s_lshl_b64 s[2:3], s[28:29], 2
	v_mul_lo_u32 v9, s10, v9
	s_add_u32 s14, s0, s2
	s_addc_u32 s28, s1, s3
	s_abs_i32 s29, s20
	s_abs_i32 s33, s21
	v_cvt_f32_u32_e32 v2, s29
	v_cvt_f32_u32_e32 v3, s33
	s_sub_i32 s0, 0, s29
	s_sub_i32 s1, 0, s33
	v_mul_lo_u32 v9, v9, s35
	v_rcp_iflag_f32_e32 v8, v2
	v_rcp_iflag_f32_e32 v10, v3
	v_add_co_u32 v2, vcc_lo, v7, v1
	v_add_co_ci_u32_e32 v3, vcc_lo, v5, v4, vcc_lo
	s_add_i32 s18, s18, -1
	s_ashr_i32 s20, s20, 31
	s_mul_i32 s18, s18, s4
	s_delay_alu instid0(VALU_DEP_1)
	v_cmp_gt_i64_e32 vcc_lo, s[30:31], v[2:3]
	s_waitcnt_depctr 0xfff
	v_dual_mul_f32 v4, 0x4f7ffffe, v8 :: v_dual_mul_f32 v5, 0x4f7ffffe, v10
	s_not_b32 s31, s18
	s_mov_b32 s34, 0
                                        ; implicit-def: $vgpr26
                                        ; implicit-def: $vgpr27
                                        ; implicit-def: $vgpr28
                                        ; implicit-def: $vgpr29
	v_mov_b32_e32 v25, 0
	s_delay_alu instid0(VALU_DEP_2) | instskip(SKIP_3) | instid1(VALU_DEP_4)
	v_cvt_u32_f32_e32 v4, v4
	v_cvt_u32_f32_e32 v5, v5
	v_cndmask_b32_e32 v20, s30, v2, vcc_lo
	v_mad_u64_u32 v[2:3], null, s37, s35, v[6:7]
	v_mul_lo_u32 v7, s0, v4
	s_delay_alu instid0(VALU_DEP_4) | instskip(SKIP_4) | instid1(VALU_DEP_3)
	v_mul_lo_u32 v8, s1, v5
	s_add_i32 s37, s37, s9
	s_add_i32 s0, s19, -1
	s_mul_i32 s19, s35, s9
	s_mul_i32 s5, s0, s5
	v_ashrrev_i32_e32 v3, 31, v2
	v_mul_lo_u32 v23, s6, v2
	v_mul_hi_u32 v7, v4, v7
	v_mul_hi_u32 v8, v5, v8
	s_mul_i32 s9, s9, s6
	v_cmp_gt_i64_e64 s0, s[24:25], v[2:3]
	s_not_b32 s10, s5
	s_ashr_i32 s6, s21, 31
	s_mul_i32 s9, s9, s35
	s_lshl_b32 s21, s35, 2
	v_add_nc_u32_e32 v21, v4, v7
	v_lshlrev_b32_e32 v7, 2, v9
	v_add_nc_u32_e32 v22, v5, v8
	v_lshlrev_b32_e32 v8, 2, v6
	v_cmp_lt_i32_e32 vcc_lo, v1, v20
	s_delay_alu instid0(VALU_DEP_4) | instskip(NEXT) | instid1(VALU_DEP_3)
	v_mad_u64_u32 v[4:5], null, s37, s35, v[6:7]
	v_add3_u32 v24, v7, v8, 0
	s_branch .LBB19_13
.LBB19_11:                              ;   in Loop: Header=BB19_13 Depth=1
	s_or_b32 exec_lo, exec_lo, s36
.LBB19_12:                              ;   in Loop: Header=BB19_13 Depth=1
	s_delay_alu instid0(SALU_CYCLE_1) | instskip(SKIP_1) | instid1(VALU_DEP_1)
	s_or_b32 exec_lo, exec_lo, s35
	v_add_nc_u32_e32 v0, s12, v0
	v_cmp_ge_i32_e64 s1, v0, v19
	s_delay_alu instid0(VALU_DEP_1) | instskip(NEXT) | instid1(SALU_CYCLE_1)
	s_or_b32 s34, s1, s34
	s_and_not1_b32 exec_lo, exec_lo, s34
	s_cbranch_execz .LBB19_59
.LBB19_13:                              ; =>This Loop Header: Depth=1
                                        ;     Child Loop BB19_19 Depth 2
                                        ;       Child Loop BB19_28 Depth 3
                                        ;         Child Loop BB19_31 Depth 4
                                        ;           Child Loop BB19_34 Depth 5
                                        ;       Child Loop BB19_40 Depth 3
                                        ;       Child Loop BB19_51 Depth 3
                                        ;       Child Loop BB19_57 Depth 3
	v_dual_mov_b32 v30, 0 :: v_dual_add_nc_u32 v5, s22, v0
	s_mov_b32 s2, exec_lo
	s_delay_alu instid0(VALU_DEP_1)
	v_cmpx_lt_i32_e64 s18, v5
	s_cbranch_execz .LBB19_15
; %bb.14:                               ;   in Loop: Header=BB19_13 Depth=1
	v_add_nc_u32_e32 v6, s31, v5
	s_delay_alu instid0(VALU_DEP_1) | instskip(NEXT) | instid1(VALU_DEP_1)
	v_sub_nc_u32_e32 v7, 0, v6
	v_max_i32_e32 v7, v6, v7
	v_ashrrev_i32_e32 v6, 31, v6
	s_delay_alu instid0(VALU_DEP_2) | instskip(NEXT) | instid1(VALU_DEP_2)
	v_mul_hi_u32 v8, v7, v21
	v_xor_b32_e32 v6, s20, v6
	s_delay_alu instid0(VALU_DEP_2) | instskip(NEXT) | instid1(VALU_DEP_1)
	v_mul_lo_u32 v9, v8, s29
	v_sub_nc_u32_e32 v7, v7, v9
	v_add_nc_u32_e32 v9, 1, v8
	s_delay_alu instid0(VALU_DEP_2) | instskip(SKIP_1) | instid1(VALU_DEP_1)
	v_subrev_nc_u32_e32 v10, s29, v7
	v_cmp_le_u32_e64 s1, s29, v7
	v_cndmask_b32_e64 v8, v8, v9, s1
	s_delay_alu instid0(VALU_DEP_3) | instskip(NEXT) | instid1(VALU_DEP_2)
	v_cndmask_b32_e64 v7, v7, v10, s1
	v_add_nc_u32_e32 v9, 1, v8
	s_delay_alu instid0(VALU_DEP_2) | instskip(NEXT) | instid1(VALU_DEP_1)
	v_cmp_le_u32_e64 s1, s29, v7
	v_cndmask_b32_e64 v7, v8, v9, s1
	s_delay_alu instid0(VALU_DEP_1) | instskip(NEXT) | instid1(VALU_DEP_1)
	v_xor_b32_e32 v7, v7, v6
	v_sub_nc_u32_e32 v6, v7, v6
	s_delay_alu instid0(VALU_DEP_1)
	v_add_nc_u32_e32 v30, 1, v6
.LBB19_15:                              ;   in Loop: Header=BB19_13 Depth=1
	s_or_b32 exec_lo, exec_lo, s2
	s_and_saveexec_b32 s35, vcc_lo
	s_cbranch_execz .LBB19_12
; %bb.16:                               ;   in Loop: Header=BB19_13 Depth=1
	v_sub_nc_u32_e32 v6, 0, v5
	v_add_nc_u32_e32 v10, 1, v30
	v_mul_lo_u32 v32, v0, s30
	s_mov_b32 s36, 0
	v_mov_b32_e32 v36, v1
	v_max_i32_e32 v6, v5, v6
	v_ashrrev_i32_e32 v5, 31, v5
	v_mul_lo_u32 v33, s7, v10
	s_delay_alu instid0(VALU_DEP_3) | instskip(NEXT) | instid1(VALU_DEP_1)
	v_mul_hi_u32 v7, v6, v21
	v_mul_lo_u32 v8, v7, s29
	s_delay_alu instid0(VALU_DEP_1) | instskip(SKIP_1) | instid1(VALU_DEP_2)
	v_sub_nc_u32_e32 v6, v6, v8
	v_add_nc_u32_e32 v8, 1, v7
	v_subrev_nc_u32_e32 v9, s29, v6
	v_cmp_le_u32_e64 s1, s29, v6
	s_delay_alu instid0(VALU_DEP_1) | instskip(NEXT) | instid1(VALU_DEP_3)
	v_cndmask_b32_e64 v7, v7, v8, s1
	v_cndmask_b32_e64 v6, v6, v9, s1
	v_xor_b32_e32 v9, s20, v5
	s_delay_alu instid0(VALU_DEP_3) | instskip(NEXT) | instid1(VALU_DEP_3)
	v_add_nc_u32_e32 v8, 1, v7
	v_cmp_le_u32_e64 s1, s29, v6
	s_delay_alu instid0(VALU_DEP_1) | instskip(NEXT) | instid1(VALU_DEP_1)
	v_cndmask_b32_e64 v5, v7, v8, s1
	v_xor_b32_e32 v6, v5, v9
	v_mul_lo_u32 v5, v30, s7
	s_delay_alu instid0(VALU_DEP_2) | instskip(NEXT) | instid1(VALU_DEP_2)
	v_sub_nc_u32_e32 v6, v6, v9
	v_add_nc_u32_e32 v8, s7, v5
	s_delay_alu instid0(VALU_DEP_2) | instskip(SKIP_1) | instid1(VALU_DEP_3)
	v_add_nc_u32_e32 v7, 1, v6
	v_ashrrev_i32_e32 v6, 31, v5
	v_ashrrev_i32_e32 v9, 31, v8
	s_delay_alu instid0(VALU_DEP_3) | instskip(NEXT) | instid1(VALU_DEP_3)
	v_min_i32_e32 v31, s16, v7
	v_lshlrev_b64 v[6:7], 3, v[5:6]
	s_delay_alu instid0(VALU_DEP_3) | instskip(NEXT) | instid1(VALU_DEP_3)
	v_lshlrev_b64 v[8:9], 3, v[8:9]
	v_sub_nc_u32_e32 v11, v31, v30
	v_cmp_eq_u32_e64 s3, v10, v31
	s_delay_alu instid0(VALU_DEP_4) | instskip(NEXT) | instid1(VALU_DEP_1)
	v_add_co_u32 v34, s1, s26, v6
	v_add_co_ci_u32_e64 v35, s1, s27, v7, s1
	s_delay_alu instid0(VALU_DEP_4) | instskip(SKIP_3) | instid1(VALU_DEP_3)
	v_cmp_gt_i32_e64 s4, 3, v11
	v_cmp_gt_i32_e64 s1, v31, v30
	v_cmp_lt_i32_e64 s2, v10, v31
	s_xor_b32 s37, s3, -1
	s_xor_b32 s38, s4, -1
	s_branch .LBB19_19
.LBB19_17:                              ;   in Loop: Header=BB19_19 Depth=2
	s_set_inst_prefetch_distance 0x2
	s_or_b32 exec_lo, exec_lo, s39
.LBB19_18:                              ;   in Loop: Header=BB19_19 Depth=2
	s_delay_alu instid0(SALU_CYCLE_1) | instskip(SKIP_1) | instid1(VALU_DEP_1)
	s_or_b32 exec_lo, exec_lo, s4
	v_add_nc_u32_e32 v36, s11, v36
	v_cmp_ge_i32_e64 s3, v36, v20
	s_delay_alu instid0(VALU_DEP_1) | instskip(NEXT) | instid1(SALU_CYCLE_1)
	s_or_b32 s36, s3, s36
	s_and_not1_b32 exec_lo, exec_lo, s36
	s_cbranch_execz .LBB19_11
.LBB19_19:                              ;   Parent Loop BB19_13 Depth=1
                                        ; =>  This Loop Header: Depth=2
                                        ;       Child Loop BB19_28 Depth 3
                                        ;         Child Loop BB19_31 Depth 4
                                        ;           Child Loop BB19_34 Depth 5
                                        ;       Child Loop BB19_40 Depth 3
                                        ;       Child Loop BB19_51 Depth 3
	;; [unrolled: 1-line block ×3, first 2 shown]
	v_dual_mov_b32 v17, 0 :: v_dual_add_nc_u32 v10, s23, v36
	s_mov_b32 s4, exec_lo
	s_delay_alu instid0(VALU_DEP_1)
	v_cmpx_lt_i32_e64 s5, v10
	s_cbranch_execz .LBB19_21
; %bb.20:                               ;   in Loop: Header=BB19_19 Depth=2
	v_add_nc_u32_e32 v11, s10, v10
	s_delay_alu instid0(VALU_DEP_1) | instskip(NEXT) | instid1(VALU_DEP_1)
	v_sub_nc_u32_e32 v12, 0, v11
	v_max_i32_e32 v12, v11, v12
	v_ashrrev_i32_e32 v11, 31, v11
	s_delay_alu instid0(VALU_DEP_2) | instskip(NEXT) | instid1(VALU_DEP_2)
	v_mul_hi_u32 v13, v12, v22
	v_xor_b32_e32 v11, s6, v11
	s_delay_alu instid0(VALU_DEP_2) | instskip(NEXT) | instid1(VALU_DEP_1)
	v_mul_lo_u32 v14, v13, s33
	v_sub_nc_u32_e32 v12, v12, v14
	v_add_nc_u32_e32 v14, 1, v13
	s_delay_alu instid0(VALU_DEP_2) | instskip(SKIP_1) | instid1(VALU_DEP_1)
	v_subrev_nc_u32_e32 v15, s33, v12
	v_cmp_le_u32_e64 s3, s33, v12
	v_cndmask_b32_e64 v13, v13, v14, s3
	s_delay_alu instid0(VALU_DEP_3) | instskip(NEXT) | instid1(VALU_DEP_2)
	v_cndmask_b32_e64 v12, v12, v15, s3
	v_add_nc_u32_e32 v14, 1, v13
	s_delay_alu instid0(VALU_DEP_2) | instskip(NEXT) | instid1(VALU_DEP_1)
	v_cmp_le_u32_e64 s3, s33, v12
	v_cndmask_b32_e64 v12, v13, v14, s3
	s_delay_alu instid0(VALU_DEP_1) | instskip(NEXT) | instid1(VALU_DEP_1)
	v_xor_b32_e32 v12, v12, v11
	v_sub_nc_u32_e32 v11, v12, v11
	s_delay_alu instid0(VALU_DEP_1)
	v_add_nc_u32_e32 v17, 1, v11
.LBB19_21:                              ;   in Loop: Header=BB19_19 Depth=2
	s_or_b32 exec_lo, exec_lo, s4
	v_sub_nc_u32_e32 v11, 0, v10
	s_delay_alu instid0(VALU_DEP_1) | instskip(SKIP_1) | instid1(VALU_DEP_2)
	v_max_i32_e32 v11, v10, v11
	v_ashrrev_i32_e32 v10, 31, v10
	v_mul_hi_u32 v12, v11, v22
	s_delay_alu instid0(VALU_DEP_2) | instskip(NEXT) | instid1(VALU_DEP_2)
	v_xor_b32_e32 v10, s6, v10
	v_mul_lo_u32 v13, v12, s33
	s_delay_alu instid0(VALU_DEP_1) | instskip(SKIP_1) | instid1(VALU_DEP_2)
	v_sub_nc_u32_e32 v11, v11, v13
	v_add_nc_u32_e32 v13, 1, v12
	v_subrev_nc_u32_e32 v14, s33, v11
	v_cmp_le_u32_e64 s3, s33, v11
	s_delay_alu instid0(VALU_DEP_1) | instskip(NEXT) | instid1(VALU_DEP_3)
	v_cndmask_b32_e64 v12, v12, v13, s3
	v_cndmask_b32_e64 v11, v11, v14, s3
	s_delay_alu instid0(VALU_DEP_2) | instskip(NEXT) | instid1(VALU_DEP_2)
	v_add_nc_u32_e32 v13, 1, v12
	v_cmp_le_u32_e64 s3, s33, v11
	s_delay_alu instid0(VALU_DEP_1) | instskip(NEXT) | instid1(VALU_DEP_1)
	v_cndmask_b32_e64 v11, v12, v13, s3
	v_xor_b32_e32 v11, v11, v10
	s_delay_alu instid0(VALU_DEP_1) | instskip(SKIP_1) | instid1(VALU_DEP_2)
	v_sub_nc_u32_e32 v10, v11, v10
	v_add_nc_u32_e32 v11, 1, v17
	v_add_nc_u32_e32 v10, 1, v10
	s_delay_alu instid0(VALU_DEP_1) | instskip(SKIP_1) | instid1(VALU_DEP_2)
	v_min_i32_e32 v18, s17, v10
	v_add_nc_u32_e32 v10, v36, v32
	v_cmp_ne_u32_e64 s3, v11, v18
	s_delay_alu instid0(VALU_DEP_1) | instskip(NEXT) | instid1(SALU_CYCLE_1)
	s_or_b32 s3, s37, s3
	s_and_saveexec_b32 s4, s3
	s_delay_alu instid0(SALU_CYCLE_1)
	s_xor_b32 s39, exec_lo, s4
	s_cbranch_execz .LBB19_53
; %bb.22:                               ;   in Loop: Header=BB19_19 Depth=2
	v_sub_nc_u32_e32 v12, v18, v17
	s_delay_alu instid0(VALU_DEP_1) | instskip(NEXT) | instid1(VALU_DEP_1)
	v_cmp_lt_i32_e64 s3, 2, v12
	s_or_b32 s3, s38, s3
	s_delay_alu instid0(SALU_CYCLE_1) | instskip(NEXT) | instid1(SALU_CYCLE_1)
	s_and_saveexec_b32 s4, s3
	s_xor_b32 s40, exec_lo, s4
	s_cbranch_execnz .LBB19_25
; %bb.23:                               ;   in Loop: Header=BB19_19 Depth=2
	s_and_not1_saveexec_b32 s40, s40
	s_cbranch_execnz .LBB19_37
.LBB19_24:                              ;   in Loop: Header=BB19_19 Depth=2
	s_or_b32 exec_lo, exec_lo, s40
	s_and_saveexec_b32 s40, s0
	s_cbranch_execnz .LBB19_50
	s_branch .LBB19_52
.LBB19_25:                              ;   in Loop: Header=BB19_19 Depth=2
	s_and_saveexec_b32 s41, s1
	s_cbranch_execz .LBB19_36
; %bb.26:                               ;   in Loop: Header=BB19_19 Depth=2
	v_mad_u64_u32 v[12:13], null, s8, v17, v[5:6]
	v_cmp_gt_i32_e64 s3, v18, v17
	v_ashrrev_i32_e32 v11, 31, v10
	v_mov_b32_e32 v37, v30
	s_mov_b32 s42, 0
	s_branch .LBB19_28
.LBB19_27:                              ;   in Loop: Header=BB19_28 Depth=3
	s_or_b32 exec_lo, exec_lo, s43
	v_add_nc_u32_e32 v37, 1, v37
	v_add_nc_u32_e32 v12, s7, v12
	s_delay_alu instid0(VALU_DEP_2) | instskip(NEXT) | instid1(VALU_DEP_1)
	v_cmp_ge_i32_e64 s4, v37, v31
	s_or_b32 s42, s4, s42
	s_delay_alu instid0(SALU_CYCLE_1)
	s_and_not1_b32 exec_lo, exec_lo, s42
	s_cbranch_execz .LBB19_36
.LBB19_28:                              ;   Parent Loop BB19_13 Depth=1
                                        ;     Parent Loop BB19_19 Depth=2
                                        ; =>    This Loop Header: Depth=3
                                        ;         Child Loop BB19_31 Depth 4
                                        ;           Child Loop BB19_34 Depth 5
	s_and_saveexec_b32 s43, s3
	s_cbranch_execz .LBB19_27
; %bb.29:                               ;   in Loop: Header=BB19_28 Depth=3
	v_mul_lo_u32 v13, v37, s7
	v_dual_mov_b32 v38, v12 :: v_dual_mov_b32 v41, v17
	s_mov_b32 s44, 0
	s_delay_alu instid0(VALU_DEP_2) | instskip(NEXT) | instid1(VALU_DEP_1)
	v_ashrrev_i32_e32 v14, 31, v13
	v_lshlrev_b64 v[13:14], 3, v[13:14]
	s_delay_alu instid0(VALU_DEP_1) | instskip(NEXT) | instid1(VALU_DEP_1)
	v_add_co_u32 v39, s4, s26, v13
	v_add_co_ci_u32_e64 v40, s4, s27, v14, s4
	s_branch .LBB19_31
.LBB19_30:                              ;   in Loop: Header=BB19_31 Depth=4
	s_set_inst_prefetch_distance 0x2
	s_or_b32 exec_lo, exec_lo, s45
	v_add_nc_u32_e32 v41, 1, v41
	v_add_nc_u32_e32 v38, s8, v38
	s_delay_alu instid0(VALU_DEP_2) | instskip(NEXT) | instid1(VALU_DEP_1)
	v_cmp_ge_i32_e64 s4, v41, v18
	s_or_b32 s44, s4, s44
	s_delay_alu instid0(SALU_CYCLE_1)
	s_and_not1_b32 exec_lo, exec_lo, s44
	s_cbranch_execz .LBB19_27
.LBB19_31:                              ;   Parent Loop BB19_13 Depth=1
                                        ;     Parent Loop BB19_19 Depth=2
                                        ;       Parent Loop BB19_28 Depth=3
                                        ; =>      This Loop Header: Depth=4
                                        ;           Child Loop BB19_34 Depth 5
	s_and_saveexec_b32 s45, s0
	s_cbranch_execz .LBB19_30
; %bb.32:                               ;   in Loop: Header=BB19_31 Depth=4
	v_mul_lo_u32 v13, v41, s8
	v_mov_b32_e32 v42, v24
	s_mov_b32 s46, 0
	s_delay_alu instid0(VALU_DEP_2) | instskip(NEXT) | instid1(VALU_DEP_1)
	v_ashrrev_i32_e32 v14, 31, v13
	v_lshlrev_b64 v[14:15], 3, v[13:14]
	v_mov_b32_e32 v13, v4
	s_delay_alu instid0(VALU_DEP_2) | instskip(NEXT) | instid1(VALU_DEP_1)
	v_add_co_u32 v43, s4, v39, v14
	v_add_co_ci_u32_e64 v44, s4, v40, v15, s4
	v_mov_b32_e32 v15, v23
	s_set_inst_prefetch_distance 0x1
	s_branch .LBB19_34
	.p2align	6
.LBB19_33:                              ;   in Loop: Header=BB19_34 Depth=5
	s_or_b32 exec_lo, exec_lo, s47
	v_ashrrev_i32_e32 v14, 31, v13
	v_add_nc_u32_e32 v15, s9, v15
	v_add_nc_u32_e32 v42, s21, v42
	s_delay_alu instid0(VALU_DEP_3) | instskip(SKIP_1) | instid1(VALU_DEP_2)
	v_cmp_le_i64_e64 s4, s[24:25], v[13:14]
	v_add_nc_u32_e32 v13, s19, v13
	s_or_b32 s46, s4, s46
	s_delay_alu instid0(SALU_CYCLE_1)
	s_and_not1_b32 exec_lo, exec_lo, s46
	s_cbranch_execz .LBB19_30
.LBB19_34:                              ;   Parent Loop BB19_13 Depth=1
                                        ;     Parent Loop BB19_19 Depth=2
                                        ;       Parent Loop BB19_28 Depth=3
                                        ;         Parent Loop BB19_31 Depth=4
                                        ; =>        This Inner Loop Header: Depth=5
	s_delay_alu instid0(VALU_DEP_1) | instskip(SKIP_1) | instid1(VALU_DEP_1)
	v_ashrrev_i32_e32 v16, 31, v15
	s_mov_b32 s47, exec_lo
	v_lshlrev_b64 v[45:46], 3, v[15:16]
	s_delay_alu instid0(VALU_DEP_1) | instskip(NEXT) | instid1(VALU_DEP_1)
	v_add_co_u32 v45, s4, v43, v45
	v_add_co_ci_u32_e64 v46, s4, v44, v46, s4
	global_load_b64 v[45:46], v[45:46], off
	s_waitcnt vmcnt(0)
	v_cmpx_eq_u64_e64 v[45:46], v[10:11]
	s_cbranch_execz .LBB19_33
; %bb.35:                               ;   in Loop: Header=BB19_34 Depth=5
	v_add_nc_u32_e32 v45, v38, v15
	ds_load_b32 v16, v42
	v_ashrrev_i32_e32 v46, 31, v45
	s_delay_alu instid0(VALU_DEP_1) | instskip(NEXT) | instid1(VALU_DEP_1)
	v_lshlrev_b64 v[45:46], 2, v[45:46]
	v_add_co_u32 v45, s4, s14, v45
	s_delay_alu instid0(VALU_DEP_1)
	v_add_co_ci_u32_e64 v46, s4, s28, v46, s4
	global_load_b32 v14, v[45:46], off
	s_waitcnt vmcnt(0) lgkmcnt(0)
	v_add_f32_e32 v14, v14, v16
	ds_store_b32 v42, v14
	s_branch .LBB19_33
.LBB19_36:                              ;   in Loop: Header=BB19_19 Depth=2
	s_or_b32 exec_lo, exec_lo, s41
                                        ; implicit-def: $vgpr18
                                        ; implicit-def: $vgpr17
                                        ; implicit-def: $vgpr11
	s_and_not1_saveexec_b32 s40, s40
	s_cbranch_execz .LBB19_24
.LBB19_37:                              ;   in Loop: Header=BB19_19 Depth=2
	s_and_saveexec_b32 s41, s0
	s_cbranch_execz .LBB19_49
; %bb.38:                               ;   in Loop: Header=BB19_19 Depth=2
	v_mul_lo_u32 v12, v17, s8
	v_cmp_gt_i32_e64 s3, v18, v17
	v_cmp_lt_i32_e64 s4, v11, v18
	v_mov_b32_e32 v38, v24
	v_not_b32_e32 v37, v10
	v_mov_b32_e32 v17, v23
	s_and_b32 s42, s1, s3
	s_and_b32 s43, s1, s4
	v_add_nc_u32_e32 v39, v33, v12
	v_add_nc_u32_e32 v14, s8, v12
	v_ashrrev_i32_e32 v13, 31, v12
	v_add_nc_u32_e32 v40, v5, v12
	s_and_b32 s44, s2, s3
	s_and_b32 s45, s2, s4
	v_ashrrev_i32_e32 v15, 31, v14
	v_add_nc_u32_e32 v41, v33, v14
	v_add_nc_u32_e32 v42, v5, v14
	v_lshlrev_b64 v[11:12], 3, v[12:13]
	s_mov_b32 s4, 0
	v_lshlrev_b64 v[13:14], 3, v[14:15]
	v_mov_b32_e32 v15, v4
	s_branch .LBB19_40
.LBB19_39:                              ;   in Loop: Header=BB19_40 Depth=3
	s_or_b32 exec_lo, exec_lo, s46
	s_waitcnt vmcnt(0)
	v_add_f32_e32 v44, 0, v29
	v_cmp_eq_u32_e64 s3, v16, v10
	v_add_nc_u32_e32 v17, s9, v17
	s_delay_alu instid0(VALU_DEP_2) | instskip(SKIP_3) | instid1(VALU_DEP_1)
	v_cndmask_b32_e64 v16, 0, v44, s3
	v_cmp_eq_u32_e64 s3, v18, v10
	ds_load_b32 v18, v38
	v_add_f32_e32 v44, v16, v28
	v_cndmask_b32_e64 v16, v16, v44, s3
	v_cmp_eq_u32_e64 s3, v43, v10
	s_delay_alu instid0(VALU_DEP_2) | instskip(NEXT) | instid1(VALU_DEP_1)
	v_add_f32_e32 v44, v16, v27
	v_cndmask_b32_e64 v16, v16, v44, s3
	v_cmp_eq_u32_e64 s3, v46, v10
	s_delay_alu instid0(VALU_DEP_2) | instskip(NEXT) | instid1(VALU_DEP_1)
	v_add_f32_e32 v43, v16, v26
	v_cndmask_b32_e64 v43, v16, v43, s3
	v_ashrrev_i32_e32 v16, 31, v15
	s_waitcnt lgkmcnt(0)
	s_delay_alu instid0(VALU_DEP_2) | instskip(NEXT) | instid1(VALU_DEP_2)
	v_add_f32_e32 v18, v43, v18
	v_cmp_le_i64_e64 s3, s[24:25], v[15:16]
	v_add_nc_u32_e32 v15, s19, v15
	ds_store_b32 v38, v18
	v_add_nc_u32_e32 v38, s21, v38
	s_or_b32 s4, s3, s4
	s_delay_alu instid0(SALU_CYCLE_1)
	s_and_not1_b32 exec_lo, exec_lo, s4
	s_cbranch_execz .LBB19_48
.LBB19_40:                              ;   Parent Loop BB19_13 Depth=1
                                        ;     Parent Loop BB19_19 Depth=2
                                        ; =>    This Inner Loop Header: Depth=3
	v_ashrrev_i32_e32 v18, 31, v17
	v_mov_b32_e32 v16, v37
	s_delay_alu instid0(VALU_DEP_2) | instskip(NEXT) | instid1(VALU_DEP_1)
	v_lshlrev_b64 v[43:44], 3, v[17:18]
	v_add_co_u32 v43, s3, s26, v43
	s_delay_alu instid0(VALU_DEP_1) | instskip(NEXT) | instid1(VALU_DEP_2)
	v_add_co_ci_u32_e64 v44, s3, s27, v44, s3
	v_add_co_u32 v45, s3, v43, v6
	s_delay_alu instid0(VALU_DEP_1)
	v_add_co_ci_u32_e64 v46, s3, v44, v7, s3
	s_and_saveexec_b32 s46, s42
	s_cbranch_execz .LBB19_42
; %bb.41:                               ;   in Loop: Header=BB19_40 Depth=3
	v_add_nc_u32_e32 v47, v40, v17
	v_add_co_u32 v49, s3, v45, v11
	s_delay_alu instid0(VALU_DEP_1) | instskip(NEXT) | instid1(VALU_DEP_3)
	v_add_co_ci_u32_e64 v50, s3, v46, v12, s3
	v_ashrrev_i32_e32 v48, 31, v47
	s_delay_alu instid0(VALU_DEP_1) | instskip(NEXT) | instid1(VALU_DEP_1)
	v_lshlrev_b64 v[47:48], 2, v[47:48]
	v_add_co_u32 v47, s3, s14, v47
	s_delay_alu instid0(VALU_DEP_1)
	v_add_co_ci_u32_e64 v48, s3, s28, v48, s3
	global_load_b32 v16, v[49:50], off
	global_load_b32 v29, v[47:48], off
.LBB19_42:                              ;   in Loop: Header=BB19_40 Depth=3
	s_or_b32 exec_lo, exec_lo, s46
	v_mov_b32_e32 v18, v37
	s_and_saveexec_b32 s46, s43
	s_cbranch_execz .LBB19_44
; %bb.43:                               ;   in Loop: Header=BB19_40 Depth=3
	v_add_nc_u32_e32 v47, v42, v17
	v_add_co_u32 v45, s3, v45, v13
	s_delay_alu instid0(VALU_DEP_1) | instskip(NEXT) | instid1(VALU_DEP_3)
	v_add_co_ci_u32_e64 v46, s3, v46, v14, s3
	v_ashrrev_i32_e32 v48, 31, v47
	s_delay_alu instid0(VALU_DEP_1) | instskip(NEXT) | instid1(VALU_DEP_1)
	v_lshlrev_b64 v[47:48], 2, v[47:48]
	v_add_co_u32 v47, s3, s14, v47
	s_delay_alu instid0(VALU_DEP_1)
	v_add_co_ci_u32_e64 v48, s3, s28, v48, s3
	global_load_b32 v18, v[45:46], off
	global_load_b32 v28, v[47:48], off
.LBB19_44:                              ;   in Loop: Header=BB19_40 Depth=3
	s_or_b32 exec_lo, exec_lo, s46
	v_add_co_u32 v45, s3, v43, v8
	s_delay_alu instid0(VALU_DEP_1)
	v_add_co_ci_u32_e64 v44, s3, v44, v9, s3
	v_mov_b32_e32 v43, v37
	s_and_saveexec_b32 s46, s44
	s_cbranch_execz .LBB19_46
; %bb.45:                               ;   in Loop: Header=BB19_40 Depth=3
	v_add_nc_u32_e32 v46, v39, v17
	v_add_co_u32 v48, s3, v45, v11
	s_delay_alu instid0(VALU_DEP_1) | instskip(NEXT) | instid1(VALU_DEP_3)
	v_add_co_ci_u32_e64 v49, s3, v44, v12, s3
	v_ashrrev_i32_e32 v47, 31, v46
	s_delay_alu instid0(VALU_DEP_1) | instskip(NEXT) | instid1(VALU_DEP_1)
	v_lshlrev_b64 v[46:47], 2, v[46:47]
	v_add_co_u32 v46, s3, s14, v46
	s_delay_alu instid0(VALU_DEP_1)
	v_add_co_ci_u32_e64 v47, s3, s28, v47, s3
	global_load_b32 v43, v[48:49], off
	global_load_b32 v27, v[46:47], off
.LBB19_46:                              ;   in Loop: Header=BB19_40 Depth=3
	s_or_b32 exec_lo, exec_lo, s46
	v_mov_b32_e32 v46, v37
	s_and_saveexec_b32 s46, s45
	s_cbranch_execz .LBB19_39
; %bb.47:                               ;   in Loop: Header=BB19_40 Depth=3
	v_add_nc_u32_e32 v46, v41, v17
	v_add_co_u32 v48, s3, v45, v13
	s_delay_alu instid0(VALU_DEP_1) | instskip(NEXT) | instid1(VALU_DEP_3)
	v_add_co_ci_u32_e64 v49, s3, v44, v14, s3
	v_ashrrev_i32_e32 v47, 31, v46
	s_delay_alu instid0(VALU_DEP_1) | instskip(NEXT) | instid1(VALU_DEP_1)
	v_lshlrev_b64 v[46:47], 2, v[46:47]
	v_add_co_u32 v44, s3, s14, v46
	s_delay_alu instid0(VALU_DEP_1)
	v_add_co_ci_u32_e64 v45, s3, s28, v47, s3
	global_load_b32 v46, v[48:49], off
	global_load_b32 v26, v[44:45], off
	s_branch .LBB19_39
.LBB19_48:                              ;   in Loop: Header=BB19_19 Depth=2
	s_or_b32 exec_lo, exec_lo, s4
.LBB19_49:                              ;   in Loop: Header=BB19_19 Depth=2
	s_delay_alu instid0(SALU_CYCLE_1) | instskip(NEXT) | instid1(SALU_CYCLE_1)
	s_or_b32 exec_lo, exec_lo, s41
	s_or_b32 exec_lo, exec_lo, s40
	s_and_saveexec_b32 s40, s0
	s_cbranch_execz .LBB19_52
.LBB19_50:                              ;   in Loop: Header=BB19_19 Depth=2
	v_ashrrev_i32_e32 v13, 31, v10
	v_mul_lo_u32 v14, v10, s25
	v_mad_u64_u32 v[11:12], null, v10, s24, 0
	s_mov_b32 s41, 0
	s_delay_alu instid0(VALU_DEP_3) | instskip(NEXT) | instid1(VALU_DEP_1)
	v_mul_lo_u32 v10, v13, s24
	v_add3_u32 v12, v12, v14, v10
	v_mov_b32_e32 v14, v24
	v_mov_b32_e32 v10, v4
	s_delay_alu instid0(VALU_DEP_3) | instskip(NEXT) | instid1(VALU_DEP_1)
	v_lshlrev_b64 v[11:12], 2, v[11:12]
	v_add_co_u32 v15, s3, s13, v11
	s_delay_alu instid0(VALU_DEP_1)
	v_add_co_ci_u32_e64 v16, s3, s15, v12, s3
	v_dual_mov_b32 v13, v3 :: v_dual_mov_b32 v12, v2
	.p2align	6
.LBB19_51:                              ;   Parent Loop BB19_13 Depth=1
                                        ;     Parent Loop BB19_19 Depth=2
                                        ; =>    This Inner Loop Header: Depth=3
	ds_load_b32 v37, v14
	v_ashrrev_i32_e32 v11, 31, v10
	v_lshlrev_b64 v[17:18], 2, v[12:13]
	ds_store_b32 v14, v25
	v_dual_mov_b32 v13, v11 :: v_dual_add_nc_u32 v14, s21, v14
	v_cmp_le_i64_e64 s3, s[24:25], v[10:11]
	v_add_co_u32 v17, s4, v15, v17
	v_mov_b32_e32 v12, v10
	v_add_co_ci_u32_e64 v18, s4, v16, v18, s4
	v_add_nc_u32_e32 v10, s19, v10
	s_or_b32 s41, s3, s41
	s_waitcnt lgkmcnt(1)
	global_store_b32 v[17:18], v37, off
	s_and_not1_b32 exec_lo, exec_lo, s41
	s_cbranch_execnz .LBB19_51
.LBB19_52:                              ;   in Loop: Header=BB19_19 Depth=2
	s_or_b32 exec_lo, exec_lo, s40
                                        ; implicit-def: $vgpr17
                                        ; implicit-def: $vgpr10
.LBB19_53:                              ;   in Loop: Header=BB19_19 Depth=2
	s_and_not1_saveexec_b32 s4, s39
	s_cbranch_execz .LBB19_18
; %bb.54:                               ;   in Loop: Header=BB19_19 Depth=2
	s_and_saveexec_b32 s39, s0
	s_cbranch_execz .LBB19_17
; %bb.55:                               ;   in Loop: Header=BB19_19 Depth=2
	v_ashrrev_i32_e32 v11, 31, v10
	v_mul_lo_u32 v13, v17, s8
	v_mul_lo_u32 v12, v10, s25
	v_mad_u64_u32 v[15:16], null, v10, s24, 0
	s_delay_alu instid0(VALU_DEP_4) | instskip(SKIP_1) | instid1(VALU_DEP_4)
	v_mul_lo_u32 v17, v11, s24
	s_mov_b32 s40, 0
	v_ashrrev_i32_e32 v14, 31, v13
	v_add_nc_u32_e32 v18, v13, v5
	s_delay_alu instid0(VALU_DEP_3) | instskip(NEXT) | instid1(VALU_DEP_3)
	v_add3_u32 v16, v16, v12, v17
	v_lshlrev_b64 v[37:38], 3, v[13:14]
	v_mov_b32_e32 v12, v4
	v_mov_b32_e32 v14, v23
	s_delay_alu instid0(VALU_DEP_4) | instskip(NEXT) | instid1(VALU_DEP_4)
	v_lshlrev_b64 v[15:16], 2, v[15:16]
	v_add_co_u32 v37, s3, v34, v37
	s_delay_alu instid0(VALU_DEP_1) | instskip(NEXT) | instid1(VALU_DEP_3)
	v_add_co_ci_u32_e64 v38, s3, v35, v38, s3
	v_add_co_u32 v39, s3, s13, v15
	s_delay_alu instid0(VALU_DEP_1)
	v_add_co_ci_u32_e64 v40, s3, s15, v16, s3
	v_dual_mov_b32 v17, v3 :: v_dual_mov_b32 v16, v2
	s_set_inst_prefetch_distance 0x1
	s_branch .LBB19_57
	.p2align	6
.LBB19_56:                              ;   in Loop: Header=BB19_57 Depth=3
	s_or_b32 exec_lo, exec_lo, s41
	v_ashrrev_i32_e32 v13, 31, v12
	v_add_nc_u32_e32 v14, s9, v14
	s_delay_alu instid0(VALU_DEP_2) | instskip(SKIP_2) | instid1(VALU_DEP_3)
	v_cmp_le_i64_e64 s3, s[24:25], v[12:13]
	v_dual_mov_b32 v17, v13 :: v_dual_mov_b32 v16, v12
	v_add_nc_u32_e32 v12, s19, v12
	s_or_b32 s40, s3, s40
	s_delay_alu instid0(SALU_CYCLE_1)
	s_and_not1_b32 exec_lo, exec_lo, s40
	s_cbranch_execz .LBB19_17
.LBB19_57:                              ;   Parent Loop BB19_13 Depth=1
                                        ;     Parent Loop BB19_19 Depth=2
                                        ; =>    This Inner Loop Header: Depth=3
	v_ashrrev_i32_e32 v15, 31, v14
	s_mov_b32 s41, exec_lo
	s_delay_alu instid0(VALU_DEP_1) | instskip(NEXT) | instid1(VALU_DEP_1)
	v_lshlrev_b64 v[41:42], 3, v[14:15]
	v_add_co_u32 v41, s3, v37, v41
	s_delay_alu instid0(VALU_DEP_1)
	v_add_co_ci_u32_e64 v42, s3, v38, v42, s3
	global_load_b64 v[41:42], v[41:42], off
	s_waitcnt vmcnt(0)
	v_cmpx_eq_u64_e64 v[41:42], v[10:11]
	s_cbranch_execz .LBB19_56
; %bb.58:                               ;   in Loop: Header=BB19_57 Depth=3
	v_add_nc_u32_e32 v41, v18, v14
	v_lshlrev_b64 v[15:16], 2, v[16:17]
	s_delay_alu instid0(VALU_DEP_2) | instskip(NEXT) | instid1(VALU_DEP_1)
	v_ashrrev_i32_e32 v42, 31, v41
	v_lshlrev_b64 v[41:42], 2, v[41:42]
	s_delay_alu instid0(VALU_DEP_1) | instskip(NEXT) | instid1(VALU_DEP_1)
	v_add_co_u32 v41, s3, s14, v41
	v_add_co_ci_u32_e64 v42, s3, s28, v42, s3
	v_add_co_u32 v15, s3, v39, v15
	s_delay_alu instid0(VALU_DEP_1)
	v_add_co_ci_u32_e64 v16, s3, v40, v16, s3
	global_load_b32 v13, v[41:42], off
	s_waitcnt vmcnt(0)
	global_store_b32 v[15:16], v13, off
	s_branch .LBB19_56
.LBB19_59:
	s_nop 0
	s_sendmsg sendmsg(MSG_DEALLOC_VGPRS)
	s_endpgm
.LBB19_60:
                                        ; implicit-def: $vgpr4_vgpr5
	s_branch .LBB19_5
.LBB19_61:
                                        ; implicit-def: $vgpr7_vgpr8
	s_branch .LBB19_8
	.section	.rodata,"a",@progbits
	.p2align	6, 0x0
	.amdhsa_kernel _ZN2at6native12_GLOBAL__N_122max_pool_backward_nhwcIffEEvPKT_PKlillliiiiiiiiiiiiiiiPS3_
		.amdhsa_group_segment_fixed_size 0
		.amdhsa_private_segment_fixed_size 0
		.amdhsa_kernarg_size 376
		.amdhsa_user_sgpr_count 13
		.amdhsa_user_sgpr_dispatch_ptr 0
		.amdhsa_user_sgpr_queue_ptr 0
		.amdhsa_user_sgpr_kernarg_segment_ptr 1
		.amdhsa_user_sgpr_dispatch_id 0
		.amdhsa_user_sgpr_private_segment_size 0
		.amdhsa_wavefront_size32 1
		.amdhsa_uses_dynamic_stack 0
		.amdhsa_enable_private_segment 0
		.amdhsa_system_sgpr_workgroup_id_x 1
		.amdhsa_system_sgpr_workgroup_id_y 1
		.amdhsa_system_sgpr_workgroup_id_z 1
		.amdhsa_system_sgpr_workgroup_info 0
		.amdhsa_system_vgpr_workitem_id 2
		.amdhsa_next_free_vgpr 51
		.amdhsa_next_free_sgpr 48
		.amdhsa_reserve_vcc 1
		.amdhsa_float_round_mode_32 0
		.amdhsa_float_round_mode_16_64 0
		.amdhsa_float_denorm_mode_32 3
		.amdhsa_float_denorm_mode_16_64 3
		.amdhsa_dx10_clamp 1
		.amdhsa_ieee_mode 1
		.amdhsa_fp16_overflow 0
		.amdhsa_workgroup_processor_mode 1
		.amdhsa_memory_ordered 1
		.amdhsa_forward_progress 0
		.amdhsa_shared_vgpr_count 0
		.amdhsa_exception_fp_ieee_invalid_op 0
		.amdhsa_exception_fp_denorm_src 0
		.amdhsa_exception_fp_ieee_div_zero 0
		.amdhsa_exception_fp_ieee_overflow 0
		.amdhsa_exception_fp_ieee_underflow 0
		.amdhsa_exception_fp_ieee_inexact 0
		.amdhsa_exception_int_div_zero 0
	.end_amdhsa_kernel
	.section	.text._ZN2at6native12_GLOBAL__N_122max_pool_backward_nhwcIffEEvPKT_PKlillliiiiiiiiiiiiiiiPS3_,"axG",@progbits,_ZN2at6native12_GLOBAL__N_122max_pool_backward_nhwcIffEEvPKT_PKlillliiiiiiiiiiiiiiiPS3_,comdat
.Lfunc_end19:
	.size	_ZN2at6native12_GLOBAL__N_122max_pool_backward_nhwcIffEEvPKT_PKlillliiiiiiiiiiiiiiiPS3_, .Lfunc_end19-_ZN2at6native12_GLOBAL__N_122max_pool_backward_nhwcIffEEvPKT_PKlillliiiiiiiiiiiiiiiPS3_
                                        ; -- End function
	.section	.AMDGPU.csdata,"",@progbits
; Kernel info:
; codeLenInByte = 5008
; NumSgprs: 50
; NumVgprs: 51
; ScratchSize: 0
; MemoryBound: 0
; FloatMode: 240
; IeeeMode: 1
; LDSByteSize: 0 bytes/workgroup (compile time only)
; SGPRBlocks: 6
; VGPRBlocks: 6
; NumSGPRsForWavesPerEU: 50
; NumVGPRsForWavesPerEU: 51
; Occupancy: 16
; WaveLimiterHint : 0
; COMPUTE_PGM_RSRC2:SCRATCH_EN: 0
; COMPUTE_PGM_RSRC2:USER_SGPR: 13
; COMPUTE_PGM_RSRC2:TRAP_HANDLER: 0
; COMPUTE_PGM_RSRC2:TGID_X_EN: 1
; COMPUTE_PGM_RSRC2:TGID_Y_EN: 1
; COMPUTE_PGM_RSRC2:TGID_Z_EN: 1
; COMPUTE_PGM_RSRC2:TIDIG_COMP_CNT: 2
	.section	.text._ZN2at6native12_GLOBAL__N_122max_pool_backward_nchwIffiEEvPKT_PKlT1_S8_S8_S8_S8_S8_iiiiiiiiPS3_,"axG",@progbits,_ZN2at6native12_GLOBAL__N_122max_pool_backward_nchwIffiEEvPKT_PKlT1_S8_S8_S8_S8_S8_iiiiiiiiPS3_,comdat
	.globl	_ZN2at6native12_GLOBAL__N_122max_pool_backward_nchwIffiEEvPKT_PKlT1_S8_S8_S8_S8_S8_iiiiiiiiPS3_ ; -- Begin function _ZN2at6native12_GLOBAL__N_122max_pool_backward_nchwIffiEEvPKT_PKlT1_S8_S8_S8_S8_S8_iiiiiiiiPS3_
	.p2align	8
	.type	_ZN2at6native12_GLOBAL__N_122max_pool_backward_nchwIffiEEvPKT_PKlT1_S8_S8_S8_S8_S8_iiiiiiiiPS3_,@function
_ZN2at6native12_GLOBAL__N_122max_pool_backward_nchwIffiEEvPKT_PKlT1_S8_S8_S8_S8_S8_iiiiiiiiPS3_: ; @_ZN2at6native12_GLOBAL__N_122max_pool_backward_nchwIffiEEvPKT_PKlT1_S8_S8_S8_S8_S8_iiiiiiiiPS3_
; %bb.0:
	s_clause 0x1
	s_load_b32 s12, s[0:1], 0x5c
	s_load_b256 s[4:11], s[0:1], 0x10
	v_mov_b32_e32 v1, 0
	s_add_u32 s2, s0, 0x50
	s_addc_u32 s3, s1, 0
	s_waitcnt lgkmcnt(0)
	s_and_b32 s34, s12, 0xffff
	s_mul_i32 s12, s7, s6
	v_mad_u64_u32 v[2:3], null, s34, s13, v[0:1]
	s_ashr_i32 s13, s12, 31
	s_mov_b32 s6, exec_lo
	s_delay_alu instid0(VALU_DEP_1)
	v_cmpx_gt_i64_e64 s[12:13], v[2:3]
	s_cbranch_execz .LBB20_23
; %bb.1:
	s_load_b256 s[16:23], s[0:1], 0x30
	s_add_i32 s6, s10, -1
	s_add_i32 s24, s11, -1
	s_load_b32 s35, s[2:3], 0x0
	s_mul_i32 s36, s9, s8
	s_mov_b32 s33, 0
	s_mul_i32 s38, s36, s5
	s_waitcnt lgkmcnt(0)
	s_mul_i32 s6, s6, s20
	s_mul_i32 s24, s24, s21
	s_not_b32 s25, s6
	s_not_b32 s26, s24
	s_cmp_lt_i32 s14, s4
	s_mul_i32 s34, s35, s34
	s_cselect_b32 s27, -1, 0
	s_cmp_lt_i32 s15, s5
	s_cselect_b32 s28, -1, 0
	s_abs_i32 s29, s7
	s_abs_i32 s30, s16
	v_cvt_f32_u32_e32 v0, s29
	v_cvt_f32_u32_e32 v1, s30
	s_abs_i32 s31, s17
	s_sub_i32 s10, 0, s29
	v_cvt_f32_u32_e32 v4, s31
	v_rcp_iflag_f32_e32 v0, v0
	v_rcp_iflag_f32_e32 v1, v1
	s_sub_i32 s11, 0, s30
	s_sub_i32 s20, 0, s31
	v_rcp_iflag_f32_e32 v4, v4
	s_ashr_i32 s35, s7, 31
	s_ashr_i32 s16, s16, 31
	;; [unrolled: 1-line block ×3, first 2 shown]
	s_waitcnt_depctr 0xfff
	v_dual_mul_f32 v0, 0x4f7ffffe, v0 :: v_dual_mul_f32 v1, 0x4f7ffffe, v1
	s_delay_alu instid0(VALU_DEP_1) | instskip(NEXT) | instid1(VALU_DEP_2)
	v_cvt_u32_f32_e32 v0, v0
	v_cvt_u32_f32_e32 v5, v1
	s_delay_alu instid0(VALU_DEP_2) | instskip(NEXT) | instid1(VALU_DEP_2)
	v_mul_lo_u32 v1, s10, v0
	v_mul_lo_u32 v6, s11, v5
	s_delay_alu instid0(VALU_DEP_2) | instskip(SKIP_1) | instid1(VALU_DEP_3)
	v_mul_hi_u32 v1, v0, v1
	v_mul_f32_e32 v4, 0x4f7ffffe, v4
	v_mul_hi_u32 v6, v5, v6
	s_delay_alu instid0(VALU_DEP_3) | instskip(NEXT) | instid1(VALU_DEP_3)
	v_add_nc_u32_e32 v1, v0, v1
	v_cvt_u32_f32_e32 v4, v4
	s_delay_alu instid0(VALU_DEP_3) | instskip(NEXT) | instid1(VALU_DEP_2)
	v_add_nc_u32_e32 v9, v5, v6
	v_mul_lo_u32 v7, s20, v4
	s_clause 0x1
	s_load_b128 s[20:23], s[0:1], 0x0
	s_load_b64 s[10:11], s[0:1], 0x48
	s_mul_i32 s0, s14, s5
	s_delay_alu instid0(SALU_CYCLE_1) | instskip(NEXT) | instid1(SALU_CYCLE_1)
	s_add_i32 s0, s15, s0
	s_mul_i32 s37, s8, s0
	s_delay_alu instid0(VALU_DEP_1) | instskip(NEXT) | instid1(VALU_DEP_1)
	v_mul_hi_u32 v7, v4, v7
	v_add_nc_u32_e32 v10, v4, v7
	s_branch .LBB20_3
.LBB20_2:                               ;   in Loop: Header=BB20_3 Depth=1
	v_add_co_u32 v2, vcc_lo, v2, s34
	v_add_co_ci_u32_e32 v3, vcc_lo, 0, v3, vcc_lo
	s_delay_alu instid0(VALU_DEP_1) | instskip(SKIP_1) | instid1(SALU_CYCLE_1)
	v_cmp_le_i64_e32 vcc_lo, s[12:13], v[2:3]
	s_or_b32 s33, vcc_lo, s33
	s_and_not1_b32 exec_lo, exec_lo, s33
	s_cbranch_execz .LBB20_23
.LBB20_3:                               ; =>This Loop Header: Depth=1
                                        ;     Child Loop BB20_10 Depth 2
                                        ;       Child Loop BB20_14 Depth 3
                                        ;         Child Loop BB20_18 Depth 4
                                        ;           Child Loop BB20_21 Depth 5
	v_sub_nc_u32_e32 v0, 0, v2
	s_mov_b32 s0, exec_lo
	v_mov_b32_e32 v11, 0
	s_delay_alu instid0(VALU_DEP_2) | instskip(NEXT) | instid1(VALU_DEP_1)
	v_max_i32_e32 v0, v2, v0
	v_mul_hi_u32 v4, v0, v1
	s_delay_alu instid0(VALU_DEP_1) | instskip(NEXT) | instid1(VALU_DEP_1)
	v_mul_lo_u32 v5, v4, s29
	v_sub_nc_u32_e32 v0, v0, v5
	s_delay_alu instid0(VALU_DEP_1) | instskip(SKIP_1) | instid1(VALU_DEP_2)
	v_subrev_nc_u32_e32 v6, s29, v0
	v_cmp_le_u32_e32 vcc_lo, s29, v0
	v_dual_cndmask_b32 v0, v0, v6 :: v_dual_add_nc_u32 v5, 1, v4
	s_delay_alu instid0(VALU_DEP_1) | instskip(SKIP_1) | instid1(VALU_DEP_3)
	v_cndmask_b32_e32 v4, v4, v5, vcc_lo
	v_ashrrev_i32_e32 v5, 31, v2
	v_cmp_le_u32_e32 vcc_lo, s29, v0
	s_delay_alu instid0(VALU_DEP_3) | instskip(NEXT) | instid1(VALU_DEP_3)
	v_add_nc_u32_e32 v6, 1, v4
	v_xor_b32_e32 v5, s35, v5
	s_delay_alu instid0(VALU_DEP_2) | instskip(NEXT) | instid1(VALU_DEP_1)
	v_cndmask_b32_e32 v0, v4, v6, vcc_lo
	v_xor_b32_e32 v0, v0, v5
	s_delay_alu instid0(VALU_DEP_1) | instskip(SKIP_1) | instid1(VALU_DEP_2)
	v_sub_nc_u32_e32 v5, v0, v5
	v_mov_b32_e32 v0, 0
	v_add_nc_u32_e32 v4, s18, v5
	s_delay_alu instid0(VALU_DEP_1)
	v_cmpx_lt_i32_e64 s6, v4
	s_cbranch_execz .LBB20_5
; %bb.4:                                ;   in Loop: Header=BB20_3 Depth=1
	v_add_nc_u32_e32 v6, s25, v4
	s_delay_alu instid0(VALU_DEP_1) | instskip(NEXT) | instid1(VALU_DEP_1)
	v_sub_nc_u32_e32 v7, 0, v6
	v_max_i32_e32 v7, v6, v7
	s_delay_alu instid0(VALU_DEP_1) | instskip(NEXT) | instid1(VALU_DEP_1)
	v_mul_hi_u32 v8, v7, v9
	v_mul_lo_u32 v11, v8, s30
	s_delay_alu instid0(VALU_DEP_1) | instskip(SKIP_1) | instid1(VALU_DEP_2)
	v_sub_nc_u32_e32 v7, v7, v11
	v_add_nc_u32_e32 v11, 1, v8
	v_subrev_nc_u32_e32 v12, s30, v7
	v_cmp_le_u32_e32 vcc_lo, s30, v7
	s_delay_alu instid0(VALU_DEP_2) | instskip(NEXT) | instid1(VALU_DEP_1)
	v_dual_cndmask_b32 v8, v8, v11 :: v_dual_cndmask_b32 v7, v7, v12
	v_add_nc_u32_e32 v11, 1, v8
	s_delay_alu instid0(VALU_DEP_2) | instskip(NEXT) | instid1(VALU_DEP_2)
	v_cmp_le_u32_e32 vcc_lo, s30, v7
	v_cndmask_b32_e32 v7, v8, v11, vcc_lo
	v_ashrrev_i32_e32 v6, 31, v6
	s_delay_alu instid0(VALU_DEP_1) | instskip(NEXT) | instid1(VALU_DEP_1)
	v_xor_b32_e32 v6, s16, v6
	v_xor_b32_e32 v7, v7, v6
	s_delay_alu instid0(VALU_DEP_1) | instskip(NEXT) | instid1(VALU_DEP_1)
	v_sub_nc_u32_e32 v6, v7, v6
	v_add_nc_u32_e32 v11, 1, v6
.LBB20_5:                               ;   in Loop: Header=BB20_3 Depth=1
	s_or_b32 exec_lo, exec_lo, s0
	v_mul_lo_u32 v5, v5, s7
	s_mov_b32 s0, exec_lo
	s_delay_alu instid0(VALU_DEP_1) | instskip(NEXT) | instid1(VALU_DEP_1)
	v_sub_nc_u32_e32 v5, v2, v5
	v_add_nc_u32_e32 v5, s19, v5
	s_delay_alu instid0(VALU_DEP_1)
	v_cmpx_lt_i32_e64 s24, v5
	s_cbranch_execz .LBB20_7
; %bb.6:                                ;   in Loop: Header=BB20_3 Depth=1
	v_add_nc_u32_e32 v0, s26, v5
	s_delay_alu instid0(VALU_DEP_1) | instskip(NEXT) | instid1(VALU_DEP_1)
	v_sub_nc_u32_e32 v6, 0, v0
	v_max_i32_e32 v6, v0, v6
	s_delay_alu instid0(VALU_DEP_1) | instskip(NEXT) | instid1(VALU_DEP_1)
	v_mul_hi_u32 v7, v6, v10
	v_mul_lo_u32 v8, v7, s31
	s_delay_alu instid0(VALU_DEP_1) | instskip(SKIP_1) | instid1(VALU_DEP_2)
	v_sub_nc_u32_e32 v6, v6, v8
	v_add_nc_u32_e32 v8, 1, v7
	v_subrev_nc_u32_e32 v12, s31, v6
	v_cmp_le_u32_e32 vcc_lo, s31, v6
	s_delay_alu instid0(VALU_DEP_3) | instskip(NEXT) | instid1(VALU_DEP_3)
	v_cndmask_b32_e32 v7, v7, v8, vcc_lo
	v_cndmask_b32_e32 v6, v6, v12, vcc_lo
	v_ashrrev_i32_e32 v0, 31, v0
	s_delay_alu instid0(VALU_DEP_3) | instskip(NEXT) | instid1(VALU_DEP_3)
	v_add_nc_u32_e32 v8, 1, v7
	v_cmp_le_u32_e32 vcc_lo, s31, v6
	s_delay_alu instid0(VALU_DEP_3) | instskip(NEXT) | instid1(VALU_DEP_3)
	v_xor_b32_e32 v0, s17, v0
	v_cndmask_b32_e32 v6, v7, v8, vcc_lo
	s_delay_alu instid0(VALU_DEP_1) | instskip(NEXT) | instid1(VALU_DEP_1)
	v_xor_b32_e32 v6, v6, v0
	v_sub_nc_u32_e32 v0, v6, v0
	s_delay_alu instid0(VALU_DEP_1)
	v_add_nc_u32_e32 v0, 1, v0
.LBB20_7:                               ;   in Loop: Header=BB20_3 Depth=1
	s_or_b32 exec_lo, exec_lo, s0
	s_delay_alu instid0(SALU_CYCLE_1)
	s_and_not1_b32 vcc_lo, exec_lo, s27
	s_cbranch_vccnz .LBB20_2
; %bb.8:                                ;   in Loop: Header=BB20_3 Depth=1
	v_sub_nc_u32_e32 v6, 0, v5
	v_sub_nc_u32_e32 v7, 0, v4
	s_load_b32 s39, s[2:3], 0x4
	s_mov_b32 s41, s14
	s_delay_alu instid0(VALU_DEP_2) | instskip(NEXT) | instid1(VALU_DEP_2)
	v_max_i32_e32 v6, v5, v6
	v_max_i32_e32 v7, v4, v7
	v_ashrrev_i32_e32 v5, 31, v5
	v_ashrrev_i32_e32 v4, 31, v4
	s_delay_alu instid0(VALU_DEP_4) | instskip(NEXT) | instid1(VALU_DEP_4)
	v_mul_hi_u32 v8, v6, v10
	v_mul_hi_u32 v12, v7, v9
	s_delay_alu instid0(VALU_DEP_4) | instskip(NEXT) | instid1(VALU_DEP_4)
	v_xor_b32_e32 v5, s17, v5
	v_xor_b32_e32 v4, s16, v4
	s_delay_alu instid0(VALU_DEP_4) | instskip(NEXT) | instid1(VALU_DEP_4)
	v_mul_lo_u32 v13, v8, s31
	v_mul_lo_u32 v14, v12, s30
	s_waitcnt lgkmcnt(0)
	s_mul_i32 s40, s38, s39
	s_delay_alu instid0(VALU_DEP_2) | instskip(NEXT) | instid1(VALU_DEP_2)
	v_sub_nc_u32_e32 v6, v6, v13
	v_sub_nc_u32_e32 v7, v7, v14
	v_add_nc_u32_e32 v14, 1, v8
	s_delay_alu instid0(VALU_DEP_3) | instskip(NEXT) | instid1(VALU_DEP_3)
	v_cmp_le_u32_e64 s0, s31, v6
	v_subrev_nc_u32_e32 v16, s30, v7
	v_cmp_le_u32_e32 vcc_lo, s30, v7
	v_subrev_nc_u32_e32 v15, s31, v6
	s_delay_alu instid0(VALU_DEP_4) | instskip(NEXT) | instid1(VALU_DEP_4)
	v_cndmask_b32_e64 v8, v8, v14, s0
	v_cndmask_b32_e32 v7, v7, v16, vcc_lo
	s_delay_alu instid0(VALU_DEP_3) | instskip(NEXT) | instid1(VALU_DEP_3)
	v_cndmask_b32_e64 v6, v6, v15, s0
	v_add_nc_u32_e32 v14, 1, v8
	v_add_nc_u32_e32 v13, 1, v12
	s_delay_alu instid0(VALU_DEP_1) | instskip(SKIP_1) | instid1(VALU_DEP_2)
	v_cndmask_b32_e32 v12, v12, v13, vcc_lo
	v_cmp_le_u32_e32 vcc_lo, s30, v7
	v_add_nc_u32_e32 v13, 1, v12
	s_delay_alu instid0(VALU_DEP_1) | instskip(SKIP_1) | instid1(VALU_DEP_2)
	v_cndmask_b32_e32 v7, v12, v13, vcc_lo
	v_cmp_le_u32_e32 vcc_lo, s31, v6
	v_xor_b32_e32 v7, v7, v4
	v_cndmask_b32_e32 v6, v8, v14, vcc_lo
	v_add_nc_u32_e32 v8, s37, v11
	s_delay_alu instid0(VALU_DEP_3) | instskip(NEXT) | instid1(VALU_DEP_3)
	v_sub_nc_u32_e32 v4, v7, v4
	v_xor_b32_e32 v6, v6, v5
	s_delay_alu instid0(VALU_DEP_2) | instskip(NEXT) | instid1(VALU_DEP_2)
	v_add_nc_u32_e32 v4, 1, v4
	v_sub_nc_u32_e32 v5, v6, v5
	v_mad_u64_u32 v[6:7], null, s9, v8, v[0:1]
	s_delay_alu instid0(VALU_DEP_3) | instskip(NEXT) | instid1(VALU_DEP_3)
	v_min_i32_e32 v12, s8, v4
	v_dual_mov_b32 v4, v2 :: v_dual_add_nc_u32 v5, 1, v5
	s_delay_alu instid0(VALU_DEP_2) | instskip(NEXT) | instid1(VALU_DEP_2)
	v_cmp_lt_i32_e64 s0, v11, v12
	v_min_i32_e32 v13, s9, v5
	v_ashrrev_i32_e32 v5, 31, v2
	s_delay_alu instid0(VALU_DEP_2)
	v_cmp_lt_i32_e64 s1, v0, v13
	s_branch .LBB20_10
.LBB20_9:                               ;   in Loop: Header=BB20_10 Depth=2
	v_add_nc_u32_e32 v6, s40, v6
	s_add_i32 s41, s39, s41
	s_delay_alu instid0(SALU_CYCLE_1)
	s_cmp_ge_i32 s41, s4
	s_cbranch_scc1 .LBB20_2
.LBB20_10:                              ;   Parent Loop BB20_3 Depth=1
                                        ; =>  This Loop Header: Depth=2
                                        ;       Child Loop BB20_14 Depth 3
                                        ;         Child Loop BB20_18 Depth 4
                                        ;           Child Loop BB20_21 Depth 5
	s_and_not1_b32 vcc_lo, exec_lo, s28
	s_cbranch_vccnz .LBB20_9
; %bb.11:                               ;   in Loop: Header=BB20_10 Depth=2
	s_load_b32 s42, s[2:3], 0x8
	v_mov_b32_e32 v14, v6
	s_mul_i32 s43, s41, s5
	s_mov_b32 s45, s15
	s_waitcnt lgkmcnt(0)
	s_mul_i32 s44, s36, s42
	s_branch .LBB20_14
.LBB20_12:                              ;   in Loop: Header=BB20_14 Depth=3
	s_set_inst_prefetch_distance 0x2
	s_or_b32 exec_lo, exec_lo, s47
.LBB20_13:                              ;   in Loop: Header=BB20_14 Depth=3
	s_delay_alu instid0(SALU_CYCLE_1) | instskip(SKIP_4) | instid1(SALU_CYCLE_1)
	s_or_b32 exec_lo, exec_lo, s46
	s_add_i32 s46, s45, s43
	v_add_nc_u32_e32 v14, s44, v14
	v_mad_u64_u32 v[7:8], null, s12, s46, v[2:3]
	s_add_i32 s45, s42, s45
	s_cmp_ge_i32 s45, s5
	s_delay_alu instid0(VALU_DEP_1) | instskip(NEXT) | instid1(VALU_DEP_1)
	v_ashrrev_i32_e32 v8, 31, v7
	v_lshlrev_b64 v[7:8], 2, v[7:8]
	s_delay_alu instid0(VALU_DEP_1) | instskip(NEXT) | instid1(VALU_DEP_2)
	v_add_co_u32 v7, vcc_lo, s10, v7
	v_add_co_ci_u32_e32 v8, vcc_lo, s11, v8, vcc_lo
	global_store_b32 v[7:8], v15, off
	s_cbranch_scc1 .LBB20_9
.LBB20_14:                              ;   Parent Loop BB20_3 Depth=1
                                        ;     Parent Loop BB20_10 Depth=2
                                        ; =>    This Loop Header: Depth=3
                                        ;         Child Loop BB20_18 Depth 4
                                        ;           Child Loop BB20_21 Depth 5
	v_mov_b32_e32 v15, 0
	s_and_saveexec_b32 s46, s0
	s_cbranch_execz .LBB20_13
; %bb.15:                               ;   in Loop: Header=BB20_14 Depth=3
	v_dual_mov_b32 v15, 0 :: v_dual_mov_b32 v16, v14
	v_mov_b32_e32 v17, v11
	s_mov_b32 s47, 0
	s_set_inst_prefetch_distance 0x1
	s_branch .LBB20_18
	.p2align	6
.LBB20_16:                              ;   in Loop: Header=BB20_18 Depth=4
	s_or_b32 exec_lo, exec_lo, s49
.LBB20_17:                              ;   in Loop: Header=BB20_18 Depth=4
	s_delay_alu instid0(SALU_CYCLE_1) | instskip(SKIP_2) | instid1(VALU_DEP_2)
	s_or_b32 exec_lo, exec_lo, s48
	v_add_nc_u32_e32 v17, 1, v17
	v_add_nc_u32_e32 v16, s9, v16
	v_cmp_ge_i32_e32 vcc_lo, v17, v12
	s_or_b32 s47, vcc_lo, s47
	s_delay_alu instid0(SALU_CYCLE_1)
	s_and_not1_b32 exec_lo, exec_lo, s47
	s_cbranch_execz .LBB20_12
.LBB20_18:                              ;   Parent Loop BB20_3 Depth=1
                                        ;     Parent Loop BB20_10 Depth=2
                                        ;       Parent Loop BB20_14 Depth=3
                                        ; =>      This Loop Header: Depth=4
                                        ;           Child Loop BB20_21 Depth 5
	s_and_saveexec_b32 s48, s1
	s_cbranch_execz .LBB20_17
; %bb.19:                               ;   in Loop: Header=BB20_18 Depth=4
	v_mov_b32_e32 v7, v16
	v_mov_b32_e32 v18, v0
	s_mov_b32 s49, 0
	s_branch .LBB20_21
	.p2align	6
.LBB20_20:                              ;   in Loop: Header=BB20_21 Depth=5
	s_or_b32 exec_lo, exec_lo, s50
	v_add_nc_u32_e32 v18, 1, v18
	v_add_nc_u32_e32 v7, 1, v7
	s_delay_alu instid0(VALU_DEP_2) | instskip(SKIP_1) | instid1(SALU_CYCLE_1)
	v_cmp_ge_i32_e32 vcc_lo, v18, v13
	s_or_b32 s49, vcc_lo, s49
	s_and_not1_b32 exec_lo, exec_lo, s49
	s_cbranch_execz .LBB20_16
.LBB20_21:                              ;   Parent Loop BB20_3 Depth=1
                                        ;     Parent Loop BB20_10 Depth=2
                                        ;       Parent Loop BB20_14 Depth=3
                                        ;         Parent Loop BB20_18 Depth=4
                                        ; =>        This Inner Loop Header: Depth=5
	s_delay_alu instid0(VALU_DEP_2) | instskip(SKIP_1) | instid1(VALU_DEP_1)
	v_ashrrev_i32_e32 v8, 31, v7
	s_mov_b32 s50, exec_lo
	v_lshlrev_b64 v[19:20], 3, v[7:8]
	s_delay_alu instid0(VALU_DEP_1) | instskip(NEXT) | instid1(VALU_DEP_2)
	v_add_co_u32 v19, vcc_lo, s22, v19
	v_add_co_ci_u32_e32 v20, vcc_lo, s23, v20, vcc_lo
	global_load_b64 v[19:20], v[19:20], off
	s_waitcnt vmcnt(0)
	v_cmpx_eq_u64_e64 v[19:20], v[4:5]
	s_cbranch_execz .LBB20_20
; %bb.22:                               ;   in Loop: Header=BB20_21 Depth=5
	v_lshlrev_b64 v[19:20], 2, v[7:8]
	s_delay_alu instid0(VALU_DEP_1) | instskip(NEXT) | instid1(VALU_DEP_2)
	v_add_co_u32 v19, vcc_lo, s20, v19
	v_add_co_ci_u32_e32 v20, vcc_lo, s21, v20, vcc_lo
	global_load_b32 v8, v[19:20], off
	s_waitcnt vmcnt(0)
	v_add_f32_e32 v15, v15, v8
	s_branch .LBB20_20
.LBB20_23:
	s_nop 0
	s_sendmsg sendmsg(MSG_DEALLOC_VGPRS)
	s_endpgm
	.section	.rodata,"a",@progbits
	.p2align	6, 0x0
	.amdhsa_kernel _ZN2at6native12_GLOBAL__N_122max_pool_backward_nchwIffiEEvPKT_PKlT1_S8_S8_S8_S8_S8_iiiiiiiiPS3_
		.amdhsa_group_segment_fixed_size 0
		.amdhsa_private_segment_fixed_size 0
		.amdhsa_kernarg_size 336
		.amdhsa_user_sgpr_count 13
		.amdhsa_user_sgpr_dispatch_ptr 0
		.amdhsa_user_sgpr_queue_ptr 0
		.amdhsa_user_sgpr_kernarg_segment_ptr 1
		.amdhsa_user_sgpr_dispatch_id 0
		.amdhsa_user_sgpr_private_segment_size 0
		.amdhsa_wavefront_size32 1
		.amdhsa_uses_dynamic_stack 0
		.amdhsa_enable_private_segment 0
		.amdhsa_system_sgpr_workgroup_id_x 1
		.amdhsa_system_sgpr_workgroup_id_y 1
		.amdhsa_system_sgpr_workgroup_id_z 1
		.amdhsa_system_sgpr_workgroup_info 0
		.amdhsa_system_vgpr_workitem_id 0
		.amdhsa_next_free_vgpr 21
		.amdhsa_next_free_sgpr 51
		.amdhsa_reserve_vcc 1
		.amdhsa_float_round_mode_32 0
		.amdhsa_float_round_mode_16_64 0
		.amdhsa_float_denorm_mode_32 3
		.amdhsa_float_denorm_mode_16_64 3
		.amdhsa_dx10_clamp 1
		.amdhsa_ieee_mode 1
		.amdhsa_fp16_overflow 0
		.amdhsa_workgroup_processor_mode 1
		.amdhsa_memory_ordered 1
		.amdhsa_forward_progress 0
		.amdhsa_shared_vgpr_count 0
		.amdhsa_exception_fp_ieee_invalid_op 0
		.amdhsa_exception_fp_denorm_src 0
		.amdhsa_exception_fp_ieee_div_zero 0
		.amdhsa_exception_fp_ieee_overflow 0
		.amdhsa_exception_fp_ieee_underflow 0
		.amdhsa_exception_fp_ieee_inexact 0
		.amdhsa_exception_int_div_zero 0
	.end_amdhsa_kernel
	.section	.text._ZN2at6native12_GLOBAL__N_122max_pool_backward_nchwIffiEEvPKT_PKlT1_S8_S8_S8_S8_S8_iiiiiiiiPS3_,"axG",@progbits,_ZN2at6native12_GLOBAL__N_122max_pool_backward_nchwIffiEEvPKT_PKlT1_S8_S8_S8_S8_S8_iiiiiiiiPS3_,comdat
.Lfunc_end20:
	.size	_ZN2at6native12_GLOBAL__N_122max_pool_backward_nchwIffiEEvPKT_PKlT1_S8_S8_S8_S8_S8_iiiiiiiiPS3_, .Lfunc_end20-_ZN2at6native12_GLOBAL__N_122max_pool_backward_nchwIffiEEvPKT_PKlT1_S8_S8_S8_S8_S8_iiiiiiiiPS3_
                                        ; -- End function
	.section	.AMDGPU.csdata,"",@progbits
; Kernel info:
; codeLenInByte = 1528
; NumSgprs: 53
; NumVgprs: 21
; ScratchSize: 0
; MemoryBound: 0
; FloatMode: 240
; IeeeMode: 1
; LDSByteSize: 0 bytes/workgroup (compile time only)
; SGPRBlocks: 6
; VGPRBlocks: 2
; NumSGPRsForWavesPerEU: 53
; NumVGPRsForWavesPerEU: 21
; Occupancy: 16
; WaveLimiterHint : 0
; COMPUTE_PGM_RSRC2:SCRATCH_EN: 0
; COMPUTE_PGM_RSRC2:USER_SGPR: 13
; COMPUTE_PGM_RSRC2:TRAP_HANDLER: 0
; COMPUTE_PGM_RSRC2:TGID_X_EN: 1
; COMPUTE_PGM_RSRC2:TGID_Y_EN: 1
; COMPUTE_PGM_RSRC2:TGID_Z_EN: 1
; COMPUTE_PGM_RSRC2:TIDIG_COMP_CNT: 0
	.section	.text._ZN2at6native12_GLOBAL__N_122max_pool_backward_nchwIfflEEvPKT_PKlT1_S8_S8_S8_S8_S8_iiiiiiiiPS3_,"axG",@progbits,_ZN2at6native12_GLOBAL__N_122max_pool_backward_nchwIfflEEvPKT_PKlT1_S8_S8_S8_S8_S8_iiiiiiiiPS3_,comdat
	.globl	_ZN2at6native12_GLOBAL__N_122max_pool_backward_nchwIfflEEvPKT_PKlT1_S8_S8_S8_S8_S8_iiiiiiiiPS3_ ; -- Begin function _ZN2at6native12_GLOBAL__N_122max_pool_backward_nchwIfflEEvPKT_PKlT1_S8_S8_S8_S8_S8_iiiiiiiiPS3_
	.p2align	8
	.type	_ZN2at6native12_GLOBAL__N_122max_pool_backward_nchwIfflEEvPKT_PKlT1_S8_S8_S8_S8_S8_iiiiiiiiPS3_,@function
_ZN2at6native12_GLOBAL__N_122max_pool_backward_nchwIfflEEvPKT_PKlT1_S8_S8_S8_S8_S8_iiiiiiiiPS3_: ; @_ZN2at6native12_GLOBAL__N_122max_pool_backward_nchwIfflEEvPKT_PKlT1_S8_S8_S8_S8_S8_iiiiiiiiPS3_
; %bb.0:
	s_clause 0x1
	s_load_b32 s2, s[0:1], 0x74
	s_load_b512 s[16:31], s[0:1], 0x0
	v_mov_b32_e32 v2, 0
	s_add_u32 s34, s0, 0x68
	s_addc_u32 s35, s1, 0
	s_delay_alu instid0(VALU_DEP_1) | instskip(SKIP_3) | instid1(VALU_DEP_1)
	v_mov_b32_e32 v1, v2
	s_waitcnt lgkmcnt(0)
	s_and_b32 s2, s2, 0xffff
	s_mul_i32 s3, s26, s25
	v_mad_u64_u32 v[4:5], null, s2, s13, v[0:1]
	s_mul_hi_u32 s4, s26, s24
	s_delay_alu instid0(SALU_CYCLE_1) | instskip(SKIP_4) | instid1(VALU_DEP_1)
	s_add_i32 s3, s4, s3
	s_mul_i32 s4, s27, s24
	s_mul_i32 s24, s26, s24
	s_add_i32 s25, s3, s4
	s_mov_b32 s3, exec_lo
	v_cmpx_gt_i64_e64 s[24:25], v[4:5]
	s_cbranch_execz .LBB21_43
; %bb.1:
	s_clause 0x1
	s_load_b256 s[4:11], s[0:1], 0x40
	s_load_b64 s[36:37], s[0:1], 0x60
	s_load_b32 s0, s[34:35], 0x0
	s_mul_i32 s1, s23, s14
	s_mul_hi_u32 s3, s22, s14
	v_cvt_f32_u32_e32 v0, s26
	s_add_i32 s3, s3, s1
	s_mov_b32 s12, s15
	s_mul_i32 s38, s22, s14
	s_mov_b32 s15, 0
	v_rcp_iflag_f32_e32 v0, v0
	s_mov_b32 s13, s15
	v_cmp_lt_i64_e64 s33, s[14:15], s[20:21]
	v_cmp_lt_i64_e64 s50, s[12:13], s[22:23]
	s_mov_b32 s62, s15
	s_waitcnt_depctr 0xfff
	v_mul_f32_e32 v0, 0x4f7ffffe, v0
	s_waitcnt lgkmcnt(0)
	s_add_i32 s1, s4, -1
	s_add_i32 s4, s5, -1
	s_mul_i32 s1, s1, s10
	s_mul_i32 s5, s4, s11
	s_ashr_i32 s53, s6, 31
	s_mov_b32 s54, s6
	s_add_i32 s4, s1, 1
	s_add_i32 s6, s5, 1
	s_ashr_i32 s51, s8, 31
	s_ashr_i32 s55, s9, 31
	;; [unrolled: 1-line block ×3, first 2 shown]
	s_mov_b32 s58, s7
	s_ashr_i32 s5, s4, 31
	s_ashr_i32 s7, s6, 31
	s_mov_b32 s52, s8
	s_add_u32 s8, s38, s12
	s_addc_u32 s1, s3, 0
	s_mul_hi_u32 s3, s28, s8
	s_mul_i32 s1, s28, s1
	s_mul_i32 s59, s0, s2
	s_add_i32 s0, s3, s1
	s_mul_i32 s1, s29, s8
	s_mul_i32 s2, s30, s29
	s_mul_hi_u32 s3, s30, s28
	s_add_i32 s60, s0, s1
	s_add_i32 s1, s3, s2
	s_mul_i32 s0, s30, s28
	s_mul_i32 s2, s31, s28
	s_mov_b32 s56, s9
	s_mul_i32 s3, s0, s23
	s_mul_hi_u32 s9, s0, s22
	s_add_i32 s1, s1, s2
	s_add_i32 s2, s9, s3
	s_mul_i32 s3, s1, s22
	v_cvt_u32_f32_e32 v32, v0
	s_add_i32 s3, s2, s3
	s_mul_i32 s2, s0, s22
	s_mul_i32 s61, s28, s8
	s_lshl_b64 s[8:9], s[2:3], 3
	s_lshl_b64 s[10:11], s[0:1], 3
	;; [unrolled: 1-line block ×6, first 2 shown]
	s_branch .LBB21_3
.LBB21_2:                               ;   in Loop: Header=BB21_3 Depth=1
	v_add_co_u32 v4, vcc_lo, v4, s59
	v_add_co_ci_u32_e32 v5, vcc_lo, 0, v5, vcc_lo
	s_delay_alu instid0(VALU_DEP_1) | instskip(SKIP_1) | instid1(SALU_CYCLE_1)
	v_cmp_le_i64_e32 vcc_lo, s[24:25], v[4:5]
	s_or_b32 s62, vcc_lo, s62
	s_and_not1_b32 exec_lo, exec_lo, s62
	s_cbranch_execz .LBB21_43
.LBB21_3:                               ; =>This Loop Header: Depth=1
                                        ;     Child Loop BB21_30 Depth 2
                                        ;       Child Loop BB21_34 Depth 3
                                        ;         Child Loop BB21_38 Depth 4
                                        ;           Child Loop BB21_41 Depth 5
	v_or_b32_e32 v3, s27, v5
                                        ; implicit-def: $vgpr6_vgpr7
	s_mov_b32 s0, exec_lo
	s_delay_alu instid0(VALU_DEP_1)
	v_cmpx_ne_u64_e32 0, v[2:3]
	s_xor_b32 s1, exec_lo, s0
	s_cbranch_execz .LBB21_5
; %bb.4:                                ;   in Loop: Header=BB21_3 Depth=1
	s_ashr_i32 s2, s27, 31
	s_delay_alu instid0(SALU_CYCLE_1) | instskip(SKIP_2) | instid1(SALU_CYCLE_1)
	s_add_u32 s46, s26, s2
	s_mov_b32 s3, s2
	s_addc_u32 s47, s27, s2
	s_xor_b64 s[46:47], s[46:47], s[2:3]
	s_delay_alu instid0(SALU_CYCLE_1) | instskip(SKIP_3) | instid1(VALU_DEP_1)
	v_cvt_f32_u32_e32 v0, s46
	v_cvt_f32_u32_e32 v1, s47
	s_sub_u32 s0, 0, s46
	s_subb_u32 s3, 0, s47
	v_fmac_f32_e32 v0, 0x4f800000, v1
	s_delay_alu instid0(VALU_DEP_1) | instskip(SKIP_2) | instid1(VALU_DEP_1)
	v_rcp_f32_e32 v0, v0
	s_waitcnt_depctr 0xfff
	v_mul_f32_e32 v0, 0x5f7ffffc, v0
	v_mul_f32_e32 v1, 0x2f800000, v0
	s_delay_alu instid0(VALU_DEP_1) | instskip(NEXT) | instid1(VALU_DEP_1)
	v_trunc_f32_e32 v1, v1
	v_fmac_f32_e32 v0, 0xcf800000, v1
	v_cvt_u32_f32_e32 v1, v1
	s_delay_alu instid0(VALU_DEP_2) | instskip(NEXT) | instid1(VALU_DEP_2)
	v_cvt_u32_f32_e32 v0, v0
	v_mul_lo_u32 v3, s0, v1
	s_delay_alu instid0(VALU_DEP_2) | instskip(SKIP_1) | instid1(VALU_DEP_2)
	v_mul_hi_u32 v6, s0, v0
	v_mul_lo_u32 v7, s3, v0
	v_add_nc_u32_e32 v3, v6, v3
	v_mul_lo_u32 v6, s0, v0
	s_delay_alu instid0(VALU_DEP_2) | instskip(NEXT) | instid1(VALU_DEP_2)
	v_add_nc_u32_e32 v3, v3, v7
	v_mul_hi_u32 v7, v0, v6
	s_delay_alu instid0(VALU_DEP_2)
	v_mul_lo_u32 v8, v0, v3
	v_mul_hi_u32 v9, v0, v3
	v_mul_hi_u32 v10, v1, v6
	v_mul_lo_u32 v6, v1, v6
	v_mul_hi_u32 v11, v1, v3
	v_mul_lo_u32 v3, v1, v3
	v_add_co_u32 v7, vcc_lo, v7, v8
	v_add_co_ci_u32_e32 v8, vcc_lo, 0, v9, vcc_lo
	s_delay_alu instid0(VALU_DEP_2) | instskip(NEXT) | instid1(VALU_DEP_2)
	v_add_co_u32 v6, vcc_lo, v7, v6
	v_add_co_ci_u32_e32 v6, vcc_lo, v8, v10, vcc_lo
	v_add_co_ci_u32_e32 v7, vcc_lo, 0, v11, vcc_lo
	v_ashrrev_i32_e32 v10, 31, v5
	s_delay_alu instid0(VALU_DEP_3) | instskip(NEXT) | instid1(VALU_DEP_3)
	v_add_co_u32 v3, vcc_lo, v6, v3
	v_add_co_ci_u32_e32 v6, vcc_lo, 0, v7, vcc_lo
	s_delay_alu instid0(VALU_DEP_2) | instskip(NEXT) | instid1(VALU_DEP_2)
	v_add_co_u32 v0, vcc_lo, v0, v3
	v_add_co_ci_u32_e32 v1, vcc_lo, v1, v6, vcc_lo
	s_delay_alu instid0(VALU_DEP_2) | instskip(SKIP_1) | instid1(VALU_DEP_3)
	v_mul_hi_u32 v3, s0, v0
	v_mul_lo_u32 v7, s3, v0
	v_mul_lo_u32 v6, s0, v1
	s_delay_alu instid0(VALU_DEP_1) | instskip(SKIP_1) | instid1(VALU_DEP_2)
	v_add_nc_u32_e32 v3, v3, v6
	v_mul_lo_u32 v6, s0, v0
	v_add_nc_u32_e32 v3, v3, v7
	s_delay_alu instid0(VALU_DEP_2) | instskip(NEXT) | instid1(VALU_DEP_2)
	v_mul_hi_u32 v7, v0, v6
	v_mul_lo_u32 v8, v0, v3
	v_mul_hi_u32 v9, v0, v3
	v_mul_hi_u32 v11, v1, v6
	v_mul_lo_u32 v6, v1, v6
	v_mul_hi_u32 v12, v1, v3
	v_mul_lo_u32 v3, v1, v3
	v_add_co_u32 v7, vcc_lo, v7, v8
	v_add_co_ci_u32_e32 v8, vcc_lo, 0, v9, vcc_lo
	s_delay_alu instid0(VALU_DEP_2) | instskip(NEXT) | instid1(VALU_DEP_2)
	v_add_co_u32 v6, vcc_lo, v7, v6
	v_add_co_ci_u32_e32 v6, vcc_lo, v8, v11, vcc_lo
	v_add_co_ci_u32_e32 v7, vcc_lo, 0, v12, vcc_lo
	v_add_co_u32 v8, vcc_lo, v4, v10
	v_add_co_ci_u32_e32 v9, vcc_lo, v5, v10, vcc_lo
	s_delay_alu instid0(VALU_DEP_4) | instskip(NEXT) | instid1(VALU_DEP_4)
	v_add_co_u32 v3, vcc_lo, v6, v3
	v_add_co_ci_u32_e32 v6, vcc_lo, 0, v7, vcc_lo
	s_delay_alu instid0(VALU_DEP_4) | instskip(NEXT) | instid1(VALU_DEP_3)
	v_xor_b32_e32 v11, v8, v10
	v_add_co_u32 v3, vcc_lo, v0, v3
	s_delay_alu instid0(VALU_DEP_3) | instskip(SKIP_1) | instid1(VALU_DEP_3)
	v_add_co_ci_u32_e32 v12, vcc_lo, v1, v6, vcc_lo
	v_xor_b32_e32 v13, v9, v10
	v_mul_hi_u32 v14, v11, v3
	s_delay_alu instid0(VALU_DEP_3) | instskip(NEXT) | instid1(VALU_DEP_3)
	v_mad_u64_u32 v[0:1], null, v11, v12, 0
	v_mad_u64_u32 v[6:7], null, v13, v3, 0
	v_mad_u64_u32 v[8:9], null, v13, v12, 0
	s_delay_alu instid0(VALU_DEP_3) | instskip(NEXT) | instid1(VALU_DEP_4)
	v_add_co_u32 v0, vcc_lo, v14, v0
	v_add_co_ci_u32_e32 v1, vcc_lo, 0, v1, vcc_lo
	s_delay_alu instid0(VALU_DEP_2) | instskip(NEXT) | instid1(VALU_DEP_2)
	v_add_co_u32 v0, vcc_lo, v0, v6
	v_add_co_ci_u32_e32 v0, vcc_lo, v1, v7, vcc_lo
	v_add_co_ci_u32_e32 v1, vcc_lo, 0, v9, vcc_lo
	s_delay_alu instid0(VALU_DEP_2) | instskip(NEXT) | instid1(VALU_DEP_2)
	v_add_co_u32 v3, vcc_lo, v0, v8
	v_add_co_ci_u32_e32 v6, vcc_lo, 0, v1, vcc_lo
	s_delay_alu instid0(VALU_DEP_2) | instskip(SKIP_1) | instid1(VALU_DEP_3)
	v_mul_lo_u32 v7, s47, v3
	v_mad_u64_u32 v[0:1], null, s46, v3, 0
	v_mul_lo_u32 v8, s46, v6
	s_delay_alu instid0(VALU_DEP_2) | instskip(NEXT) | instid1(VALU_DEP_2)
	v_sub_co_u32 v0, vcc_lo, v11, v0
	v_add3_u32 v1, v1, v8, v7
	s_delay_alu instid0(VALU_DEP_1) | instskip(NEXT) | instid1(VALU_DEP_1)
	v_sub_nc_u32_e32 v7, v13, v1
	v_subrev_co_ci_u32_e64 v7, s0, s47, v7, vcc_lo
	v_add_co_u32 v8, s0, v3, 2
	s_delay_alu instid0(VALU_DEP_1) | instskip(SKIP_3) | instid1(VALU_DEP_3)
	v_add_co_ci_u32_e64 v9, s0, 0, v6, s0
	v_sub_co_u32 v11, s0, v0, s46
	v_sub_co_ci_u32_e32 v1, vcc_lo, v13, v1, vcc_lo
	v_subrev_co_ci_u32_e64 v7, s0, 0, v7, s0
	v_cmp_le_u32_e32 vcc_lo, s46, v11
	s_delay_alu instid0(VALU_DEP_3) | instskip(SKIP_1) | instid1(VALU_DEP_4)
	v_cmp_eq_u32_e64 s0, s47, v1
	v_cndmask_b32_e64 v11, 0, -1, vcc_lo
	v_cmp_le_u32_e32 vcc_lo, s47, v7
	v_cndmask_b32_e64 v12, 0, -1, vcc_lo
	v_cmp_le_u32_e32 vcc_lo, s46, v0
	;; [unrolled: 2-line block ×3, first 2 shown]
	v_cndmask_b32_e64 v13, 0, -1, vcc_lo
	v_cmp_eq_u32_e32 vcc_lo, s47, v7
	s_delay_alu instid0(VALU_DEP_2) | instskip(SKIP_3) | instid1(VALU_DEP_3)
	v_cndmask_b32_e64 v0, v13, v0, s0
	v_cndmask_b32_e32 v7, v12, v11, vcc_lo
	v_add_co_u32 v11, vcc_lo, v3, 1
	v_add_co_ci_u32_e32 v12, vcc_lo, 0, v6, vcc_lo
	v_cmp_ne_u32_e32 vcc_lo, 0, v7
	s_delay_alu instid0(VALU_DEP_2) | instskip(NEXT) | instid1(VALU_DEP_4)
	v_cndmask_b32_e32 v1, v12, v9, vcc_lo
	v_cndmask_b32_e32 v7, v11, v8, vcc_lo
	v_cmp_ne_u32_e32 vcc_lo, 0, v0
	v_xor_b32_e32 v0, s2, v10
	s_delay_alu instid0(VALU_DEP_3) | instskip(SKIP_1) | instid1(VALU_DEP_2)
	v_cndmask_b32_e32 v3, v3, v7, vcc_lo
	v_cndmask_b32_e32 v1, v6, v1, vcc_lo
	v_xor_b32_e32 v3, v3, v0
	s_delay_alu instid0(VALU_DEP_2) | instskip(NEXT) | instid1(VALU_DEP_2)
	v_xor_b32_e32 v1, v1, v0
	v_sub_co_u32 v6, vcc_lo, v3, v0
	s_delay_alu instid0(VALU_DEP_2)
	v_sub_co_ci_u32_e32 v7, vcc_lo, v1, v0, vcc_lo
.LBB21_5:                               ;   in Loop: Header=BB21_3 Depth=1
	s_and_not1_saveexec_b32 s0, s1
	s_cbranch_execz .LBB21_7
; %bb.6:                                ;   in Loop: Header=BB21_3 Depth=1
	s_sub_i32 s1, 0, s26
	v_mov_b32_e32 v7, v2
	v_mul_lo_u32 v0, s1, v32
	s_delay_alu instid0(VALU_DEP_1) | instskip(NEXT) | instid1(VALU_DEP_1)
	v_mul_hi_u32 v0, v32, v0
	v_add_nc_u32_e32 v0, v32, v0
	s_delay_alu instid0(VALU_DEP_1) | instskip(NEXT) | instid1(VALU_DEP_1)
	v_mul_hi_u32 v0, v4, v0
	v_mul_lo_u32 v1, v0, s26
	v_add_nc_u32_e32 v3, 1, v0
	s_delay_alu instid0(VALU_DEP_2) | instskip(NEXT) | instid1(VALU_DEP_1)
	v_sub_nc_u32_e32 v1, v4, v1
	v_subrev_nc_u32_e32 v6, s26, v1
	v_cmp_le_u32_e32 vcc_lo, s26, v1
	s_delay_alu instid0(VALU_DEP_2) | instskip(NEXT) | instid1(VALU_DEP_1)
	v_dual_cndmask_b32 v1, v1, v6 :: v_dual_cndmask_b32 v0, v0, v3
	v_cmp_le_u32_e32 vcc_lo, s26, v1
	s_delay_alu instid0(VALU_DEP_2) | instskip(NEXT) | instid1(VALU_DEP_1)
	v_add_nc_u32_e32 v3, 1, v0
	v_cndmask_b32_e32 v6, v0, v3, vcc_lo
.LBB21_7:                               ;   in Loop: Header=BB21_3 Depth=1
	s_or_b32 exec_lo, exec_lo, s0
	s_delay_alu instid0(VALU_DEP_1) | instskip(SKIP_4) | instid1(VALU_DEP_2)
	v_add_co_u32 v10, vcc_lo, v6, s52
	v_mov_b32_e32 v0, 0
	v_add_co_ci_u32_e32 v11, vcc_lo, s51, v7, vcc_lo
	v_mov_b32_e32 v1, 0
	s_mov_b32 s1, exec_lo
	v_cmpx_le_i64_e64 s[4:5], v[10:11]
	s_cbranch_execz .LBB21_13
; %bb.8:                                ;   in Loop: Header=BB21_3 Depth=1
	v_sub_co_u32 v8, vcc_lo, v10, s4
	v_subrev_co_ci_u32_e32 v9, vcc_lo, s5, v11, vcc_lo
                                        ; implicit-def: $vgpr0_vgpr1
	s_mov_b32 s0, exec_lo
	s_delay_alu instid0(VALU_DEP_1) | instskip(NEXT) | instid1(VALU_DEP_1)
	v_or_b32_e32 v3, s53, v9
	v_cmpx_ne_u64_e32 0, v[2:3]
	s_xor_b32 s48, exec_lo, s0
	s_cbranch_execz .LBB21_10
; %bb.9:                                ;   in Loop: Header=BB21_3 Depth=1
	s_add_u32 s46, s54, s53
	s_mov_b32 s2, s53
	s_mov_b32 s3, s53
	s_addc_u32 s47, s53, s53
	s_delay_alu instid0(SALU_CYCLE_1) | instskip(NEXT) | instid1(SALU_CYCLE_1)
	s_xor_b64 s[46:47], s[46:47], s[2:3]
	v_cvt_f32_u32_e32 v0, s46
	v_cvt_f32_u32_e32 v1, s47
	s_sub_u32 s0, 0, s46
	s_subb_u32 s49, 0, s47
	s_delay_alu instid0(VALU_DEP_1) | instskip(NEXT) | instid1(VALU_DEP_1)
	v_fmac_f32_e32 v0, 0x4f800000, v1
	v_rcp_f32_e32 v0, v0
	s_waitcnt_depctr 0xfff
	v_mul_f32_e32 v0, 0x5f7ffffc, v0
	s_delay_alu instid0(VALU_DEP_1) | instskip(NEXT) | instid1(VALU_DEP_1)
	v_mul_f32_e32 v1, 0x2f800000, v0
	v_trunc_f32_e32 v1, v1
	s_delay_alu instid0(VALU_DEP_1) | instskip(SKIP_1) | instid1(VALU_DEP_2)
	v_fmac_f32_e32 v0, 0xcf800000, v1
	v_cvt_u32_f32_e32 v1, v1
	v_cvt_u32_f32_e32 v0, v0
	s_delay_alu instid0(VALU_DEP_2) | instskip(NEXT) | instid1(VALU_DEP_2)
	v_mul_lo_u32 v3, s0, v1
	v_mul_hi_u32 v12, s0, v0
	v_mul_lo_u32 v13, s49, v0
	s_delay_alu instid0(VALU_DEP_2) | instskip(SKIP_1) | instid1(VALU_DEP_2)
	v_add_nc_u32_e32 v3, v12, v3
	v_mul_lo_u32 v12, s0, v0
	v_add_nc_u32_e32 v3, v3, v13
	s_delay_alu instid0(VALU_DEP_2) | instskip(NEXT) | instid1(VALU_DEP_2)
	v_mul_hi_u32 v13, v0, v12
	v_mul_lo_u32 v14, v0, v3
	v_mul_hi_u32 v15, v0, v3
	v_mul_hi_u32 v16, v1, v12
	v_mul_lo_u32 v12, v1, v12
	v_mul_hi_u32 v17, v1, v3
	v_mul_lo_u32 v3, v1, v3
	v_add_co_u32 v13, vcc_lo, v13, v14
	v_add_co_ci_u32_e32 v14, vcc_lo, 0, v15, vcc_lo
	s_delay_alu instid0(VALU_DEP_2) | instskip(NEXT) | instid1(VALU_DEP_2)
	v_add_co_u32 v12, vcc_lo, v13, v12
	v_add_co_ci_u32_e32 v12, vcc_lo, v14, v16, vcc_lo
	v_add_co_ci_u32_e32 v13, vcc_lo, 0, v17, vcc_lo
	v_ashrrev_i32_e32 v16, 31, v9
	s_delay_alu instid0(VALU_DEP_3) | instskip(NEXT) | instid1(VALU_DEP_3)
	v_add_co_u32 v3, vcc_lo, v12, v3
	v_add_co_ci_u32_e32 v12, vcc_lo, 0, v13, vcc_lo
	s_delay_alu instid0(VALU_DEP_2) | instskip(NEXT) | instid1(VALU_DEP_2)
	v_add_co_u32 v0, vcc_lo, v0, v3
	v_add_co_ci_u32_e32 v1, vcc_lo, v1, v12, vcc_lo
	s_delay_alu instid0(VALU_DEP_2) | instskip(SKIP_1) | instid1(VALU_DEP_3)
	v_mul_hi_u32 v3, s0, v0
	v_mul_lo_u32 v13, s49, v0
	v_mul_lo_u32 v12, s0, v1
	s_delay_alu instid0(VALU_DEP_1) | instskip(SKIP_1) | instid1(VALU_DEP_2)
	v_add_nc_u32_e32 v3, v3, v12
	v_mul_lo_u32 v12, s0, v0
	v_add_nc_u32_e32 v3, v3, v13
	s_delay_alu instid0(VALU_DEP_2) | instskip(NEXT) | instid1(VALU_DEP_2)
	v_mul_hi_u32 v13, v0, v12
	v_mul_lo_u32 v14, v0, v3
	v_mul_hi_u32 v15, v0, v3
	v_mul_hi_u32 v17, v1, v12
	v_mul_lo_u32 v12, v1, v12
	v_mul_hi_u32 v18, v1, v3
	v_mul_lo_u32 v3, v1, v3
	v_add_co_u32 v13, vcc_lo, v13, v14
	v_add_co_ci_u32_e32 v14, vcc_lo, 0, v15, vcc_lo
	s_delay_alu instid0(VALU_DEP_2) | instskip(NEXT) | instid1(VALU_DEP_2)
	v_add_co_u32 v12, vcc_lo, v13, v12
	v_add_co_ci_u32_e32 v12, vcc_lo, v14, v17, vcc_lo
	v_add_co_ci_u32_e32 v13, vcc_lo, 0, v18, vcc_lo
	v_add_co_u32 v8, vcc_lo, v8, v16
	v_add_co_ci_u32_e32 v9, vcc_lo, v9, v16, vcc_lo
	s_delay_alu instid0(VALU_DEP_4) | instskip(NEXT) | instid1(VALU_DEP_4)
	v_add_co_u32 v3, vcc_lo, v12, v3
	v_add_co_ci_u32_e32 v12, vcc_lo, 0, v13, vcc_lo
	s_delay_alu instid0(VALU_DEP_4) | instskip(NEXT) | instid1(VALU_DEP_3)
	v_xor_b32_e32 v14, v8, v16
	v_add_co_u32 v3, vcc_lo, v0, v3
	s_delay_alu instid0(VALU_DEP_3) | instskip(SKIP_1) | instid1(VALU_DEP_3)
	v_add_co_ci_u32_e32 v15, vcc_lo, v1, v12, vcc_lo
	v_xor_b32_e32 v17, v9, v16
	v_mul_hi_u32 v18, v14, v3
	s_delay_alu instid0(VALU_DEP_3) | instskip(NEXT) | instid1(VALU_DEP_3)
	v_mad_u64_u32 v[0:1], null, v14, v15, 0
	v_mad_u64_u32 v[8:9], null, v17, v3, 0
	;; [unrolled: 1-line block ×3, first 2 shown]
	s_delay_alu instid0(VALU_DEP_3) | instskip(NEXT) | instid1(VALU_DEP_4)
	v_add_co_u32 v0, vcc_lo, v18, v0
	v_add_co_ci_u32_e32 v1, vcc_lo, 0, v1, vcc_lo
	s_delay_alu instid0(VALU_DEP_2) | instskip(NEXT) | instid1(VALU_DEP_2)
	v_add_co_u32 v0, vcc_lo, v0, v8
	v_add_co_ci_u32_e32 v0, vcc_lo, v1, v9, vcc_lo
	v_add_co_ci_u32_e32 v1, vcc_lo, 0, v13, vcc_lo
	s_delay_alu instid0(VALU_DEP_2) | instskip(NEXT) | instid1(VALU_DEP_2)
	v_add_co_u32 v3, vcc_lo, v0, v12
	v_add_co_ci_u32_e32 v8, vcc_lo, 0, v1, vcc_lo
	s_delay_alu instid0(VALU_DEP_2) | instskip(SKIP_1) | instid1(VALU_DEP_3)
	v_mul_lo_u32 v9, s47, v3
	v_mad_u64_u32 v[0:1], null, s46, v3, 0
	v_mul_lo_u32 v12, s46, v8
	s_delay_alu instid0(VALU_DEP_2) | instskip(NEXT) | instid1(VALU_DEP_2)
	v_sub_co_u32 v0, vcc_lo, v14, v0
	v_add3_u32 v1, v1, v12, v9
	s_delay_alu instid0(VALU_DEP_1) | instskip(NEXT) | instid1(VALU_DEP_1)
	v_sub_nc_u32_e32 v9, v17, v1
	v_subrev_co_ci_u32_e64 v9, s0, s47, v9, vcc_lo
	v_add_co_u32 v12, s0, v3, 2
	s_delay_alu instid0(VALU_DEP_1) | instskip(SKIP_3) | instid1(VALU_DEP_3)
	v_add_co_ci_u32_e64 v13, s0, 0, v8, s0
	v_sub_co_u32 v14, s0, v0, s46
	v_sub_co_ci_u32_e32 v1, vcc_lo, v17, v1, vcc_lo
	v_subrev_co_ci_u32_e64 v9, s0, 0, v9, s0
	v_cmp_le_u32_e32 vcc_lo, s46, v14
	s_delay_alu instid0(VALU_DEP_3) | instskip(SKIP_1) | instid1(VALU_DEP_4)
	v_cmp_eq_u32_e64 s0, s47, v1
	v_cndmask_b32_e64 v14, 0, -1, vcc_lo
	v_cmp_le_u32_e32 vcc_lo, s47, v9
	v_cndmask_b32_e64 v15, 0, -1, vcc_lo
	v_cmp_le_u32_e32 vcc_lo, s46, v0
	;; [unrolled: 2-line block ×3, first 2 shown]
	v_cndmask_b32_e64 v17, 0, -1, vcc_lo
	v_cmp_eq_u32_e32 vcc_lo, s47, v9
	s_delay_alu instid0(VALU_DEP_2) | instskip(SKIP_3) | instid1(VALU_DEP_3)
	v_cndmask_b32_e64 v0, v17, v0, s0
	v_cndmask_b32_e32 v9, v15, v14, vcc_lo
	v_add_co_u32 v14, vcc_lo, v3, 1
	v_add_co_ci_u32_e32 v15, vcc_lo, 0, v8, vcc_lo
	v_cmp_ne_u32_e32 vcc_lo, 0, v9
	s_delay_alu instid0(VALU_DEP_2) | instskip(NEXT) | instid1(VALU_DEP_4)
	v_cndmask_b32_e32 v1, v15, v13, vcc_lo
	v_cndmask_b32_e32 v9, v14, v12, vcc_lo
	v_cmp_ne_u32_e32 vcc_lo, 0, v0
	v_xor_b32_e32 v0, s2, v16
	s_delay_alu instid0(VALU_DEP_3) | instskip(SKIP_2) | instid1(VALU_DEP_3)
	v_cndmask_b32_e32 v3, v3, v9, vcc_lo
	v_cndmask_b32_e32 v1, v8, v1, vcc_lo
	v_xor_b32_e32 v8, s3, v16
	v_xor_b32_e32 v3, v3, v0
	s_delay_alu instid0(VALU_DEP_2) | instskip(NEXT) | instid1(VALU_DEP_2)
	v_xor_b32_e32 v1, v1, v8
	v_sub_co_u32 v0, vcc_lo, v3, v0
	s_delay_alu instid0(VALU_DEP_2)
	v_sub_co_ci_u32_e32 v1, vcc_lo, v1, v8, vcc_lo
                                        ; implicit-def: $vgpr8
.LBB21_10:                              ;   in Loop: Header=BB21_3 Depth=1
	s_and_not1_saveexec_b32 s0, s48
	s_cbranch_execz .LBB21_12
; %bb.11:                               ;   in Loop: Header=BB21_3 Depth=1
	v_cvt_f32_u32_e32 v0, s54
	s_sub_i32 s2, 0, s54
	s_delay_alu instid0(VALU_DEP_1) | instskip(SKIP_2) | instid1(VALU_DEP_1)
	v_rcp_iflag_f32_e32 v0, v0
	s_waitcnt_depctr 0xfff
	v_mul_f32_e32 v0, 0x4f7ffffe, v0
	v_cvt_u32_f32_e32 v0, v0
	s_delay_alu instid0(VALU_DEP_1) | instskip(NEXT) | instid1(VALU_DEP_1)
	v_mul_lo_u32 v1, s2, v0
	v_mul_hi_u32 v1, v0, v1
	s_delay_alu instid0(VALU_DEP_1) | instskip(NEXT) | instid1(VALU_DEP_1)
	v_add_nc_u32_e32 v0, v0, v1
	v_mul_hi_u32 v0, v8, v0
	s_delay_alu instid0(VALU_DEP_1) | instskip(SKIP_1) | instid1(VALU_DEP_2)
	v_mul_lo_u32 v1, v0, s54
	v_add_nc_u32_e32 v3, 1, v0
	v_sub_nc_u32_e32 v1, v8, v1
	s_delay_alu instid0(VALU_DEP_1) | instskip(SKIP_1) | instid1(VALU_DEP_2)
	v_subrev_nc_u32_e32 v8, s54, v1
	v_cmp_le_u32_e32 vcc_lo, s54, v1
	v_dual_cndmask_b32 v1, v1, v8 :: v_dual_cndmask_b32 v0, v0, v3
	s_delay_alu instid0(VALU_DEP_1) | instskip(NEXT) | instid1(VALU_DEP_2)
	v_cmp_le_u32_e32 vcc_lo, s54, v1
	v_add_nc_u32_e32 v3, 1, v0
	s_delay_alu instid0(VALU_DEP_1)
	v_dual_mov_b32 v1, v2 :: v_dual_cndmask_b32 v0, v0, v3
.LBB21_12:                              ;   in Loop: Header=BB21_3 Depth=1
	s_or_b32 exec_lo, exec_lo, s0
	s_delay_alu instid0(VALU_DEP_1) | instskip(NEXT) | instid1(VALU_DEP_2)
	v_add_co_u32 v0, vcc_lo, v0, 1
	v_add_co_ci_u32_e32 v1, vcc_lo, 0, v1, vcc_lo
.LBB21_13:                              ;   in Loop: Header=BB21_3 Depth=1
	s_or_b32 exec_lo, exec_lo, s1
	v_or_b32_e32 v3, s53, v11
                                        ; implicit-def: $vgpr8_vgpr9
	s_mov_b32 s0, exec_lo
	s_delay_alu instid0(VALU_DEP_1)
	v_cmpx_ne_u64_e32 0, v[2:3]
	s_xor_b32 s1, exec_lo, s0
	s_cbranch_execz .LBB21_15
; %bb.14:                               ;   in Loop: Header=BB21_3 Depth=1
	s_add_u32 s46, s54, s53
	s_mov_b32 s2, s53
	s_mov_b32 s3, s53
	s_addc_u32 s47, s53, s53
	s_delay_alu instid0(SALU_CYCLE_1) | instskip(NEXT) | instid1(SALU_CYCLE_1)
	s_xor_b64 s[46:47], s[46:47], s[2:3]
	v_cvt_f32_u32_e32 v3, s46
	v_cvt_f32_u32_e32 v8, s47
	s_sub_u32 s0, 0, s46
	s_subb_u32 s48, 0, s47
	s_delay_alu instid0(VALU_DEP_1) | instskip(NEXT) | instid1(VALU_DEP_1)
	v_fmac_f32_e32 v3, 0x4f800000, v8
	v_rcp_f32_e32 v3, v3
	s_waitcnt_depctr 0xfff
	v_mul_f32_e32 v3, 0x5f7ffffc, v3
	s_delay_alu instid0(VALU_DEP_1) | instskip(NEXT) | instid1(VALU_DEP_1)
	v_mul_f32_e32 v8, 0x2f800000, v3
	v_trunc_f32_e32 v8, v8
	s_delay_alu instid0(VALU_DEP_1) | instskip(SKIP_1) | instid1(VALU_DEP_2)
	v_fmac_f32_e32 v3, 0xcf800000, v8
	v_cvt_u32_f32_e32 v8, v8
	v_cvt_u32_f32_e32 v3, v3
	s_delay_alu instid0(VALU_DEP_2) | instskip(NEXT) | instid1(VALU_DEP_2)
	v_mul_lo_u32 v9, s0, v8
	v_mul_hi_u32 v12, s0, v3
	v_mul_lo_u32 v13, s48, v3
	s_delay_alu instid0(VALU_DEP_2) | instskip(SKIP_1) | instid1(VALU_DEP_2)
	v_add_nc_u32_e32 v9, v12, v9
	v_mul_lo_u32 v12, s0, v3
	v_add_nc_u32_e32 v9, v9, v13
	s_delay_alu instid0(VALU_DEP_2) | instskip(NEXT) | instid1(VALU_DEP_2)
	v_mul_hi_u32 v13, v3, v12
	v_mul_lo_u32 v14, v3, v9
	v_mul_hi_u32 v15, v3, v9
	v_mul_hi_u32 v16, v8, v12
	v_mul_lo_u32 v12, v8, v12
	v_mul_hi_u32 v17, v8, v9
	v_mul_lo_u32 v9, v8, v9
	v_add_co_u32 v13, vcc_lo, v13, v14
	v_add_co_ci_u32_e32 v14, vcc_lo, 0, v15, vcc_lo
	s_delay_alu instid0(VALU_DEP_2) | instskip(NEXT) | instid1(VALU_DEP_2)
	v_add_co_u32 v12, vcc_lo, v13, v12
	v_add_co_ci_u32_e32 v12, vcc_lo, v14, v16, vcc_lo
	v_add_co_ci_u32_e32 v13, vcc_lo, 0, v17, vcc_lo
	v_ashrrev_i32_e32 v16, 31, v11
	s_delay_alu instid0(VALU_DEP_3) | instskip(NEXT) | instid1(VALU_DEP_3)
	v_add_co_u32 v9, vcc_lo, v12, v9
	v_add_co_ci_u32_e32 v12, vcc_lo, 0, v13, vcc_lo
	s_delay_alu instid0(VALU_DEP_2) | instskip(NEXT) | instid1(VALU_DEP_2)
	v_add_co_u32 v3, vcc_lo, v3, v9
	v_add_co_ci_u32_e32 v8, vcc_lo, v8, v12, vcc_lo
	s_delay_alu instid0(VALU_DEP_2) | instskip(SKIP_1) | instid1(VALU_DEP_3)
	v_mul_hi_u32 v9, s0, v3
	v_mul_lo_u32 v13, s48, v3
	v_mul_lo_u32 v12, s0, v8
	s_delay_alu instid0(VALU_DEP_1) | instskip(SKIP_1) | instid1(VALU_DEP_2)
	v_add_nc_u32_e32 v9, v9, v12
	v_mul_lo_u32 v12, s0, v3
	v_add_nc_u32_e32 v9, v9, v13
	s_delay_alu instid0(VALU_DEP_2) | instskip(NEXT) | instid1(VALU_DEP_2)
	v_mul_hi_u32 v13, v3, v12
	v_mul_lo_u32 v14, v3, v9
	v_mul_hi_u32 v15, v3, v9
	v_mul_hi_u32 v17, v8, v12
	v_mul_lo_u32 v12, v8, v12
	v_mul_hi_u32 v18, v8, v9
	v_mul_lo_u32 v9, v8, v9
	v_add_co_u32 v13, vcc_lo, v13, v14
	v_add_co_ci_u32_e32 v14, vcc_lo, 0, v15, vcc_lo
	s_delay_alu instid0(VALU_DEP_2) | instskip(NEXT) | instid1(VALU_DEP_2)
	v_add_co_u32 v12, vcc_lo, v13, v12
	v_add_co_ci_u32_e32 v12, vcc_lo, v14, v17, vcc_lo
	v_add_co_ci_u32_e32 v13, vcc_lo, 0, v18, vcc_lo
	v_add_co_u32 v10, vcc_lo, v10, v16
	v_add_co_ci_u32_e32 v11, vcc_lo, v11, v16, vcc_lo
	s_delay_alu instid0(VALU_DEP_4) | instskip(NEXT) | instid1(VALU_DEP_4)
	v_add_co_u32 v9, vcc_lo, v12, v9
	v_add_co_ci_u32_e32 v12, vcc_lo, 0, v13, vcc_lo
	s_delay_alu instid0(VALU_DEP_4) | instskip(NEXT) | instid1(VALU_DEP_3)
	v_xor_b32_e32 v14, v10, v16
	v_add_co_u32 v3, vcc_lo, v3, v9
	s_delay_alu instid0(VALU_DEP_3) | instskip(SKIP_1) | instid1(VALU_DEP_3)
	v_add_co_ci_u32_e32 v15, vcc_lo, v8, v12, vcc_lo
	v_xor_b32_e32 v17, v11, v16
	v_mul_hi_u32 v18, v14, v3
	s_delay_alu instid0(VALU_DEP_3) | instskip(NEXT) | instid1(VALU_DEP_3)
	v_mad_u64_u32 v[8:9], null, v14, v15, 0
	v_mad_u64_u32 v[10:11], null, v17, v3, 0
	;; [unrolled: 1-line block ×3, first 2 shown]
	s_delay_alu instid0(VALU_DEP_3) | instskip(NEXT) | instid1(VALU_DEP_4)
	v_add_co_u32 v3, vcc_lo, v18, v8
	v_add_co_ci_u32_e32 v8, vcc_lo, 0, v9, vcc_lo
	s_delay_alu instid0(VALU_DEP_2) | instskip(NEXT) | instid1(VALU_DEP_2)
	v_add_co_u32 v3, vcc_lo, v3, v10
	v_add_co_ci_u32_e32 v3, vcc_lo, v8, v11, vcc_lo
	v_add_co_ci_u32_e32 v8, vcc_lo, 0, v13, vcc_lo
	s_delay_alu instid0(VALU_DEP_2) | instskip(NEXT) | instid1(VALU_DEP_2)
	v_add_co_u32 v3, vcc_lo, v3, v12
	v_add_co_ci_u32_e32 v10, vcc_lo, 0, v8, vcc_lo
	s_delay_alu instid0(VALU_DEP_2) | instskip(SKIP_1) | instid1(VALU_DEP_3)
	v_mul_lo_u32 v11, s47, v3
	v_mad_u64_u32 v[8:9], null, s46, v3, 0
	v_mul_lo_u32 v12, s46, v10
	s_delay_alu instid0(VALU_DEP_2) | instskip(NEXT) | instid1(VALU_DEP_2)
	v_sub_co_u32 v8, vcc_lo, v14, v8
	v_add3_u32 v9, v9, v12, v11
	s_delay_alu instid0(VALU_DEP_1) | instskip(NEXT) | instid1(VALU_DEP_1)
	v_sub_nc_u32_e32 v11, v17, v9
	v_subrev_co_ci_u32_e64 v11, s0, s47, v11, vcc_lo
	v_add_co_u32 v12, s0, v3, 2
	s_delay_alu instid0(VALU_DEP_1) | instskip(SKIP_3) | instid1(VALU_DEP_3)
	v_add_co_ci_u32_e64 v13, s0, 0, v10, s0
	v_sub_co_u32 v14, s0, v8, s46
	v_sub_co_ci_u32_e32 v9, vcc_lo, v17, v9, vcc_lo
	v_subrev_co_ci_u32_e64 v11, s0, 0, v11, s0
	v_cmp_le_u32_e32 vcc_lo, s46, v14
	s_delay_alu instid0(VALU_DEP_3) | instskip(SKIP_1) | instid1(VALU_DEP_4)
	v_cmp_eq_u32_e64 s0, s47, v9
	v_cndmask_b32_e64 v14, 0, -1, vcc_lo
	v_cmp_le_u32_e32 vcc_lo, s47, v11
	v_cndmask_b32_e64 v15, 0, -1, vcc_lo
	v_cmp_le_u32_e32 vcc_lo, s46, v8
	;; [unrolled: 2-line block ×3, first 2 shown]
	v_cndmask_b32_e64 v17, 0, -1, vcc_lo
	v_cmp_eq_u32_e32 vcc_lo, s47, v11
	s_delay_alu instid0(VALU_DEP_2) | instskip(SKIP_3) | instid1(VALU_DEP_3)
	v_cndmask_b32_e64 v8, v17, v8, s0
	v_cndmask_b32_e32 v11, v15, v14, vcc_lo
	v_add_co_u32 v14, vcc_lo, v3, 1
	v_add_co_ci_u32_e32 v15, vcc_lo, 0, v10, vcc_lo
	v_cmp_ne_u32_e32 vcc_lo, 0, v11
	s_delay_alu instid0(VALU_DEP_2) | instskip(NEXT) | instid1(VALU_DEP_4)
	v_cndmask_b32_e32 v9, v15, v13, vcc_lo
	v_cndmask_b32_e32 v11, v14, v12, vcc_lo
	v_cmp_ne_u32_e32 vcc_lo, 0, v8
	v_xor_b32_e32 v8, s2, v16
	s_delay_alu instid0(VALU_DEP_3) | instskip(SKIP_2) | instid1(VALU_DEP_3)
	v_cndmask_b32_e32 v3, v3, v11, vcc_lo
	v_cndmask_b32_e32 v9, v10, v9, vcc_lo
	v_xor_b32_e32 v10, s3, v16
	v_xor_b32_e32 v3, v3, v8
	s_delay_alu instid0(VALU_DEP_2) | instskip(NEXT) | instid1(VALU_DEP_2)
	v_xor_b32_e32 v9, v9, v10
	v_sub_co_u32 v8, vcc_lo, v3, v8
	s_delay_alu instid0(VALU_DEP_2)
	v_sub_co_ci_u32_e32 v9, vcc_lo, v9, v10, vcc_lo
                                        ; implicit-def: $vgpr10
.LBB21_15:                              ;   in Loop: Header=BB21_3 Depth=1
	s_and_not1_saveexec_b32 s0, s1
	s_cbranch_execz .LBB21_17
; %bb.16:                               ;   in Loop: Header=BB21_3 Depth=1
	v_cvt_f32_u32_e32 v3, s54
	s_sub_i32 s1, 0, s54
	s_delay_alu instid0(VALU_DEP_1) | instskip(SKIP_2) | instid1(VALU_DEP_1)
	v_rcp_iflag_f32_e32 v3, v3
	s_waitcnt_depctr 0xfff
	v_mul_f32_e32 v3, 0x4f7ffffe, v3
	v_cvt_u32_f32_e32 v3, v3
	s_delay_alu instid0(VALU_DEP_1) | instskip(NEXT) | instid1(VALU_DEP_1)
	v_mul_lo_u32 v8, s1, v3
	v_mul_hi_u32 v8, v3, v8
	s_delay_alu instid0(VALU_DEP_1) | instskip(NEXT) | instid1(VALU_DEP_1)
	v_add_nc_u32_e32 v3, v3, v8
	v_mul_hi_u32 v3, v10, v3
	s_delay_alu instid0(VALU_DEP_1) | instskip(SKIP_1) | instid1(VALU_DEP_2)
	v_mul_lo_u32 v8, v3, s54
	v_add_nc_u32_e32 v9, 1, v3
	v_sub_nc_u32_e32 v8, v10, v8
	s_delay_alu instid0(VALU_DEP_1) | instskip(SKIP_1) | instid1(VALU_DEP_2)
	v_subrev_nc_u32_e32 v10, s54, v8
	v_cmp_le_u32_e32 vcc_lo, s54, v8
	v_dual_cndmask_b32 v8, v8, v10 :: v_dual_cndmask_b32 v3, v3, v9
	s_delay_alu instid0(VALU_DEP_1) | instskip(NEXT) | instid1(VALU_DEP_2)
	v_cmp_le_u32_e32 vcc_lo, s54, v8
	v_add_nc_u32_e32 v9, 1, v3
	s_delay_alu instid0(VALU_DEP_1)
	v_dual_cndmask_b32 v8, v3, v9 :: v_dual_mov_b32 v9, v2
.LBB21_17:                              ;   in Loop: Header=BB21_3 Depth=1
	s_or_b32 exec_lo, exec_lo, s0
	v_mul_lo_u32 v3, v7, s26
	v_mul_lo_u32 v7, v6, s27
	v_mad_u64_u32 v[10:11], null, v6, s26, 0
	s_mov_b32 s1, exec_lo
	s_delay_alu instid0(VALU_DEP_1) | instskip(NEXT) | instid1(VALU_DEP_2)
	v_add3_u32 v3, v11, v7, v3
	v_sub_co_u32 v6, vcc_lo, v4, v10
	s_delay_alu instid0(VALU_DEP_2) | instskip(NEXT) | instid1(VALU_DEP_2)
	v_sub_co_ci_u32_e32 v3, vcc_lo, v5, v3, vcc_lo
	v_add_co_u32 v10, vcc_lo, v6, s56
	v_mov_b32_e32 v6, 0
	s_delay_alu instid0(VALU_DEP_3) | instskip(SKIP_1) | instid1(VALU_DEP_2)
	v_add_co_ci_u32_e32 v11, vcc_lo, s55, v3, vcc_lo
	v_mov_b32_e32 v7, 0
	v_cmpx_le_i64_e64 s[6:7], v[10:11]
	s_cbranch_execz .LBB21_23
; %bb.18:                               ;   in Loop: Header=BB21_3 Depth=1
	v_sub_co_u32 v12, vcc_lo, v10, s6
	v_subrev_co_ci_u32_e32 v13, vcc_lo, s7, v11, vcc_lo
                                        ; implicit-def: $vgpr6_vgpr7
	s_mov_b32 s0, exec_lo
	s_delay_alu instid0(VALU_DEP_1) | instskip(NEXT) | instid1(VALU_DEP_1)
	v_or_b32_e32 v3, s57, v13
	v_cmpx_ne_u64_e32 0, v[2:3]
	s_xor_b32 s48, exec_lo, s0
	s_cbranch_execz .LBB21_20
; %bb.19:                               ;   in Loop: Header=BB21_3 Depth=1
	s_add_u32 s46, s58, s57
	s_mov_b32 s2, s57
	s_mov_b32 s3, s57
	s_addc_u32 s47, s57, s57
	s_delay_alu instid0(SALU_CYCLE_1) | instskip(NEXT) | instid1(SALU_CYCLE_1)
	s_xor_b64 s[46:47], s[46:47], s[2:3]
	v_cvt_f32_u32_e32 v3, s46
	v_cvt_f32_u32_e32 v6, s47
	s_sub_u32 s0, 0, s46
	s_subb_u32 s49, 0, s47
	s_delay_alu instid0(VALU_DEP_1) | instskip(NEXT) | instid1(VALU_DEP_1)
	v_fmac_f32_e32 v3, 0x4f800000, v6
	v_rcp_f32_e32 v3, v3
	s_waitcnt_depctr 0xfff
	v_mul_f32_e32 v3, 0x5f7ffffc, v3
	s_delay_alu instid0(VALU_DEP_1) | instskip(NEXT) | instid1(VALU_DEP_1)
	v_mul_f32_e32 v6, 0x2f800000, v3
	v_trunc_f32_e32 v6, v6
	s_delay_alu instid0(VALU_DEP_1) | instskip(SKIP_1) | instid1(VALU_DEP_2)
	v_fmac_f32_e32 v3, 0xcf800000, v6
	v_cvt_u32_f32_e32 v6, v6
	v_cvt_u32_f32_e32 v3, v3
	s_delay_alu instid0(VALU_DEP_2) | instskip(NEXT) | instid1(VALU_DEP_2)
	v_mul_lo_u32 v7, s0, v6
	v_mul_hi_u32 v14, s0, v3
	v_mul_lo_u32 v15, s49, v3
	s_delay_alu instid0(VALU_DEP_2) | instskip(SKIP_1) | instid1(VALU_DEP_2)
	v_add_nc_u32_e32 v7, v14, v7
	v_mul_lo_u32 v14, s0, v3
	v_add_nc_u32_e32 v7, v7, v15
	s_delay_alu instid0(VALU_DEP_2) | instskip(NEXT) | instid1(VALU_DEP_2)
	v_mul_hi_u32 v15, v3, v14
	v_mul_lo_u32 v16, v3, v7
	v_mul_hi_u32 v17, v3, v7
	v_mul_hi_u32 v18, v6, v14
	v_mul_lo_u32 v14, v6, v14
	v_mul_hi_u32 v19, v6, v7
	v_mul_lo_u32 v7, v6, v7
	v_add_co_u32 v15, vcc_lo, v15, v16
	v_add_co_ci_u32_e32 v16, vcc_lo, 0, v17, vcc_lo
	s_delay_alu instid0(VALU_DEP_2) | instskip(NEXT) | instid1(VALU_DEP_2)
	v_add_co_u32 v14, vcc_lo, v15, v14
	v_add_co_ci_u32_e32 v14, vcc_lo, v16, v18, vcc_lo
	v_add_co_ci_u32_e32 v15, vcc_lo, 0, v19, vcc_lo
	v_ashrrev_i32_e32 v18, 31, v13
	s_delay_alu instid0(VALU_DEP_3) | instskip(NEXT) | instid1(VALU_DEP_3)
	v_add_co_u32 v7, vcc_lo, v14, v7
	v_add_co_ci_u32_e32 v14, vcc_lo, 0, v15, vcc_lo
	s_delay_alu instid0(VALU_DEP_2) | instskip(NEXT) | instid1(VALU_DEP_2)
	v_add_co_u32 v3, vcc_lo, v3, v7
	v_add_co_ci_u32_e32 v6, vcc_lo, v6, v14, vcc_lo
	s_delay_alu instid0(VALU_DEP_2) | instskip(SKIP_1) | instid1(VALU_DEP_3)
	v_mul_hi_u32 v7, s0, v3
	v_mul_lo_u32 v15, s49, v3
	v_mul_lo_u32 v14, s0, v6
	s_delay_alu instid0(VALU_DEP_1) | instskip(SKIP_1) | instid1(VALU_DEP_2)
	v_add_nc_u32_e32 v7, v7, v14
	v_mul_lo_u32 v14, s0, v3
	v_add_nc_u32_e32 v7, v7, v15
	s_delay_alu instid0(VALU_DEP_2) | instskip(NEXT) | instid1(VALU_DEP_2)
	v_mul_hi_u32 v15, v3, v14
	v_mul_lo_u32 v16, v3, v7
	v_mul_hi_u32 v17, v3, v7
	v_mul_hi_u32 v19, v6, v14
	v_mul_lo_u32 v14, v6, v14
	v_mul_hi_u32 v20, v6, v7
	v_mul_lo_u32 v7, v6, v7
	v_add_co_u32 v15, vcc_lo, v15, v16
	v_add_co_ci_u32_e32 v16, vcc_lo, 0, v17, vcc_lo
	s_delay_alu instid0(VALU_DEP_2) | instskip(NEXT) | instid1(VALU_DEP_2)
	v_add_co_u32 v14, vcc_lo, v15, v14
	v_add_co_ci_u32_e32 v14, vcc_lo, v16, v19, vcc_lo
	v_add_co_ci_u32_e32 v15, vcc_lo, 0, v20, vcc_lo
	v_add_co_u32 v12, vcc_lo, v12, v18
	v_add_co_ci_u32_e32 v13, vcc_lo, v13, v18, vcc_lo
	s_delay_alu instid0(VALU_DEP_4) | instskip(NEXT) | instid1(VALU_DEP_4)
	v_add_co_u32 v7, vcc_lo, v14, v7
	v_add_co_ci_u32_e32 v14, vcc_lo, 0, v15, vcc_lo
	s_delay_alu instid0(VALU_DEP_4) | instskip(NEXT) | instid1(VALU_DEP_3)
	v_xor_b32_e32 v16, v12, v18
	v_add_co_u32 v3, vcc_lo, v3, v7
	s_delay_alu instid0(VALU_DEP_3) | instskip(SKIP_1) | instid1(VALU_DEP_3)
	v_add_co_ci_u32_e32 v17, vcc_lo, v6, v14, vcc_lo
	v_xor_b32_e32 v19, v13, v18
	v_mul_hi_u32 v20, v16, v3
	s_delay_alu instid0(VALU_DEP_3) | instskip(NEXT) | instid1(VALU_DEP_3)
	v_mad_u64_u32 v[6:7], null, v16, v17, 0
	v_mad_u64_u32 v[12:13], null, v19, v3, 0
	;; [unrolled: 1-line block ×3, first 2 shown]
	s_delay_alu instid0(VALU_DEP_3) | instskip(NEXT) | instid1(VALU_DEP_4)
	v_add_co_u32 v3, vcc_lo, v20, v6
	v_add_co_ci_u32_e32 v6, vcc_lo, 0, v7, vcc_lo
	s_delay_alu instid0(VALU_DEP_2) | instskip(NEXT) | instid1(VALU_DEP_2)
	v_add_co_u32 v3, vcc_lo, v3, v12
	v_add_co_ci_u32_e32 v3, vcc_lo, v6, v13, vcc_lo
	v_add_co_ci_u32_e32 v6, vcc_lo, 0, v15, vcc_lo
	s_delay_alu instid0(VALU_DEP_2) | instskip(NEXT) | instid1(VALU_DEP_2)
	v_add_co_u32 v3, vcc_lo, v3, v14
	v_add_co_ci_u32_e32 v12, vcc_lo, 0, v6, vcc_lo
	s_delay_alu instid0(VALU_DEP_2) | instskip(SKIP_1) | instid1(VALU_DEP_3)
	v_mul_lo_u32 v13, s47, v3
	v_mad_u64_u32 v[6:7], null, s46, v3, 0
	v_mul_lo_u32 v14, s46, v12
	s_delay_alu instid0(VALU_DEP_2) | instskip(NEXT) | instid1(VALU_DEP_2)
	v_sub_co_u32 v6, vcc_lo, v16, v6
	v_add3_u32 v7, v7, v14, v13
	s_delay_alu instid0(VALU_DEP_1) | instskip(NEXT) | instid1(VALU_DEP_1)
	v_sub_nc_u32_e32 v13, v19, v7
	v_subrev_co_ci_u32_e64 v13, s0, s47, v13, vcc_lo
	v_add_co_u32 v14, s0, v3, 2
	s_delay_alu instid0(VALU_DEP_1) | instskip(SKIP_3) | instid1(VALU_DEP_3)
	v_add_co_ci_u32_e64 v15, s0, 0, v12, s0
	v_sub_co_u32 v16, s0, v6, s46
	v_sub_co_ci_u32_e32 v7, vcc_lo, v19, v7, vcc_lo
	v_subrev_co_ci_u32_e64 v13, s0, 0, v13, s0
	v_cmp_le_u32_e32 vcc_lo, s46, v16
	s_delay_alu instid0(VALU_DEP_3) | instskip(SKIP_1) | instid1(VALU_DEP_4)
	v_cmp_eq_u32_e64 s0, s47, v7
	v_cndmask_b32_e64 v16, 0, -1, vcc_lo
	v_cmp_le_u32_e32 vcc_lo, s47, v13
	v_cndmask_b32_e64 v17, 0, -1, vcc_lo
	v_cmp_le_u32_e32 vcc_lo, s46, v6
	;; [unrolled: 2-line block ×3, first 2 shown]
	v_cndmask_b32_e64 v19, 0, -1, vcc_lo
	v_cmp_eq_u32_e32 vcc_lo, s47, v13
	s_delay_alu instid0(VALU_DEP_2) | instskip(SKIP_3) | instid1(VALU_DEP_3)
	v_cndmask_b32_e64 v6, v19, v6, s0
	v_cndmask_b32_e32 v13, v17, v16, vcc_lo
	v_add_co_u32 v16, vcc_lo, v3, 1
	v_add_co_ci_u32_e32 v17, vcc_lo, 0, v12, vcc_lo
	v_cmp_ne_u32_e32 vcc_lo, 0, v13
	s_delay_alu instid0(VALU_DEP_2) | instskip(NEXT) | instid1(VALU_DEP_4)
	v_cndmask_b32_e32 v7, v17, v15, vcc_lo
	v_cndmask_b32_e32 v13, v16, v14, vcc_lo
	v_cmp_ne_u32_e32 vcc_lo, 0, v6
	v_xor_b32_e32 v6, s2, v18
	s_delay_alu instid0(VALU_DEP_3) | instskip(SKIP_2) | instid1(VALU_DEP_3)
	v_cndmask_b32_e32 v3, v3, v13, vcc_lo
	v_cndmask_b32_e32 v7, v12, v7, vcc_lo
	v_xor_b32_e32 v12, s3, v18
	v_xor_b32_e32 v3, v3, v6
	s_delay_alu instid0(VALU_DEP_2) | instskip(NEXT) | instid1(VALU_DEP_2)
	v_xor_b32_e32 v7, v7, v12
	v_sub_co_u32 v6, vcc_lo, v3, v6
	s_delay_alu instid0(VALU_DEP_2)
	v_sub_co_ci_u32_e32 v7, vcc_lo, v7, v12, vcc_lo
                                        ; implicit-def: $vgpr12
.LBB21_20:                              ;   in Loop: Header=BB21_3 Depth=1
	s_and_not1_saveexec_b32 s0, s48
	s_cbranch_execz .LBB21_22
; %bb.21:                               ;   in Loop: Header=BB21_3 Depth=1
	v_cvt_f32_u32_e32 v3, s58
	s_sub_i32 s2, 0, s58
	s_delay_alu instid0(VALU_DEP_1) | instskip(SKIP_2) | instid1(VALU_DEP_1)
	v_rcp_iflag_f32_e32 v3, v3
	s_waitcnt_depctr 0xfff
	v_mul_f32_e32 v3, 0x4f7ffffe, v3
	v_cvt_u32_f32_e32 v3, v3
	s_delay_alu instid0(VALU_DEP_1) | instskip(NEXT) | instid1(VALU_DEP_1)
	v_mul_lo_u32 v6, s2, v3
	v_mul_hi_u32 v6, v3, v6
	s_delay_alu instid0(VALU_DEP_1) | instskip(NEXT) | instid1(VALU_DEP_1)
	v_add_nc_u32_e32 v3, v3, v6
	v_mul_hi_u32 v3, v12, v3
	s_delay_alu instid0(VALU_DEP_1) | instskip(SKIP_1) | instid1(VALU_DEP_2)
	v_mul_lo_u32 v6, v3, s58
	v_add_nc_u32_e32 v7, 1, v3
	v_sub_nc_u32_e32 v6, v12, v6
	s_delay_alu instid0(VALU_DEP_1) | instskip(SKIP_1) | instid1(VALU_DEP_2)
	v_subrev_nc_u32_e32 v12, s58, v6
	v_cmp_le_u32_e32 vcc_lo, s58, v6
	v_dual_cndmask_b32 v6, v6, v12 :: v_dual_cndmask_b32 v3, v3, v7
	s_delay_alu instid0(VALU_DEP_1) | instskip(NEXT) | instid1(VALU_DEP_2)
	v_cmp_le_u32_e32 vcc_lo, s58, v6
	v_add_nc_u32_e32 v7, 1, v3
	s_delay_alu instid0(VALU_DEP_1)
	v_dual_cndmask_b32 v6, v3, v7 :: v_dual_mov_b32 v7, v2
.LBB21_22:                              ;   in Loop: Header=BB21_3 Depth=1
	s_or_b32 exec_lo, exec_lo, s0
	s_delay_alu instid0(VALU_DEP_1) | instskip(NEXT) | instid1(VALU_DEP_2)
	v_add_co_u32 v6, vcc_lo, v6, 1
	v_add_co_ci_u32_e32 v7, vcc_lo, 0, v7, vcc_lo
.LBB21_23:                              ;   in Loop: Header=BB21_3 Depth=1
	s_or_b32 exec_lo, exec_lo, s1
	v_or_b32_e32 v3, s57, v11
                                        ; implicit-def: $vgpr12_vgpr13
	s_mov_b32 s0, exec_lo
	s_delay_alu instid0(VALU_DEP_1)
	v_cmpx_ne_u64_e32 0, v[2:3]
	s_xor_b32 s1, exec_lo, s0
	s_cbranch_execnz .LBB21_26
; %bb.24:                               ;   in Loop: Header=BB21_3 Depth=1
	s_and_not1_saveexec_b32 s0, s1
	s_cbranch_execnz .LBB21_27
.LBB21_25:                              ;   in Loop: Header=BB21_3 Depth=1
	s_or_b32 exec_lo, exec_lo, s0
	s_delay_alu instid0(SALU_CYCLE_1)
	s_and_not1_b32 vcc_lo, exec_lo, s33
	s_cbranch_vccnz .LBB21_2
	s_branch .LBB21_28
.LBB21_26:                              ;   in Loop: Header=BB21_3 Depth=1
	s_add_u32 s46, s58, s57
	s_mov_b32 s2, s57
	s_mov_b32 s3, s57
	s_addc_u32 s47, s57, s57
	s_delay_alu instid0(SALU_CYCLE_1) | instskip(NEXT) | instid1(SALU_CYCLE_1)
	s_xor_b64 s[46:47], s[46:47], s[2:3]
	v_cvt_f32_u32_e32 v3, s46
	v_cvt_f32_u32_e32 v12, s47
	s_sub_u32 s0, 0, s46
	s_subb_u32 s48, 0, s47
	s_delay_alu instid0(VALU_DEP_1) | instskip(NEXT) | instid1(VALU_DEP_1)
	v_fmac_f32_e32 v3, 0x4f800000, v12
	v_rcp_f32_e32 v3, v3
	s_waitcnt_depctr 0xfff
	v_mul_f32_e32 v3, 0x5f7ffffc, v3
	s_delay_alu instid0(VALU_DEP_1) | instskip(NEXT) | instid1(VALU_DEP_1)
	v_mul_f32_e32 v12, 0x2f800000, v3
	v_trunc_f32_e32 v12, v12
	s_delay_alu instid0(VALU_DEP_1) | instskip(SKIP_1) | instid1(VALU_DEP_2)
	v_fmac_f32_e32 v3, 0xcf800000, v12
	v_cvt_u32_f32_e32 v12, v12
	v_cvt_u32_f32_e32 v3, v3
	s_delay_alu instid0(VALU_DEP_2) | instskip(NEXT) | instid1(VALU_DEP_2)
	v_mul_lo_u32 v13, s0, v12
	v_mul_hi_u32 v14, s0, v3
	v_mul_lo_u32 v15, s48, v3
	s_delay_alu instid0(VALU_DEP_2) | instskip(SKIP_1) | instid1(VALU_DEP_2)
	v_add_nc_u32_e32 v13, v14, v13
	v_mul_lo_u32 v14, s0, v3
	v_add_nc_u32_e32 v13, v13, v15
	s_delay_alu instid0(VALU_DEP_2) | instskip(NEXT) | instid1(VALU_DEP_2)
	v_mul_hi_u32 v15, v3, v14
	v_mul_lo_u32 v16, v3, v13
	v_mul_hi_u32 v17, v3, v13
	v_mul_hi_u32 v18, v12, v14
	v_mul_lo_u32 v14, v12, v14
	v_mul_hi_u32 v19, v12, v13
	v_mul_lo_u32 v13, v12, v13
	v_add_co_u32 v15, vcc_lo, v15, v16
	v_add_co_ci_u32_e32 v16, vcc_lo, 0, v17, vcc_lo
	s_delay_alu instid0(VALU_DEP_2) | instskip(NEXT) | instid1(VALU_DEP_2)
	v_add_co_u32 v14, vcc_lo, v15, v14
	v_add_co_ci_u32_e32 v14, vcc_lo, v16, v18, vcc_lo
	v_add_co_ci_u32_e32 v15, vcc_lo, 0, v19, vcc_lo
	v_ashrrev_i32_e32 v18, 31, v11
	s_delay_alu instid0(VALU_DEP_3) | instskip(NEXT) | instid1(VALU_DEP_3)
	v_add_co_u32 v13, vcc_lo, v14, v13
	v_add_co_ci_u32_e32 v14, vcc_lo, 0, v15, vcc_lo
	s_delay_alu instid0(VALU_DEP_2) | instskip(NEXT) | instid1(VALU_DEP_2)
	v_add_co_u32 v3, vcc_lo, v3, v13
	v_add_co_ci_u32_e32 v12, vcc_lo, v12, v14, vcc_lo
	s_delay_alu instid0(VALU_DEP_2) | instskip(SKIP_1) | instid1(VALU_DEP_3)
	v_mul_hi_u32 v13, s0, v3
	v_mul_lo_u32 v15, s48, v3
	v_mul_lo_u32 v14, s0, v12
	s_delay_alu instid0(VALU_DEP_1) | instskip(SKIP_1) | instid1(VALU_DEP_2)
	v_add_nc_u32_e32 v13, v13, v14
	v_mul_lo_u32 v14, s0, v3
	v_add_nc_u32_e32 v13, v13, v15
	s_delay_alu instid0(VALU_DEP_2) | instskip(NEXT) | instid1(VALU_DEP_2)
	v_mul_hi_u32 v15, v3, v14
	v_mul_lo_u32 v16, v3, v13
	v_mul_hi_u32 v17, v3, v13
	v_mul_hi_u32 v19, v12, v14
	v_mul_lo_u32 v14, v12, v14
	v_mul_hi_u32 v20, v12, v13
	v_mul_lo_u32 v13, v12, v13
	v_add_co_u32 v15, vcc_lo, v15, v16
	v_add_co_ci_u32_e32 v16, vcc_lo, 0, v17, vcc_lo
	s_delay_alu instid0(VALU_DEP_2) | instskip(NEXT) | instid1(VALU_DEP_2)
	v_add_co_u32 v14, vcc_lo, v15, v14
	v_add_co_ci_u32_e32 v14, vcc_lo, v16, v19, vcc_lo
	v_add_co_ci_u32_e32 v15, vcc_lo, 0, v20, vcc_lo
	v_add_co_u32 v10, vcc_lo, v10, v18
	v_add_co_ci_u32_e32 v11, vcc_lo, v11, v18, vcc_lo
	s_delay_alu instid0(VALU_DEP_4) | instskip(NEXT) | instid1(VALU_DEP_4)
	v_add_co_u32 v13, vcc_lo, v14, v13
	v_add_co_ci_u32_e32 v14, vcc_lo, 0, v15, vcc_lo
	s_delay_alu instid0(VALU_DEP_4) | instskip(NEXT) | instid1(VALU_DEP_3)
	v_xor_b32_e32 v16, v10, v18
	v_add_co_u32 v3, vcc_lo, v3, v13
	s_delay_alu instid0(VALU_DEP_3) | instskip(SKIP_1) | instid1(VALU_DEP_3)
	v_add_co_ci_u32_e32 v17, vcc_lo, v12, v14, vcc_lo
	v_xor_b32_e32 v19, v11, v18
	v_mul_hi_u32 v20, v16, v3
	s_delay_alu instid0(VALU_DEP_3) | instskip(NEXT) | instid1(VALU_DEP_3)
	v_mad_u64_u32 v[10:11], null, v16, v17, 0
	v_mad_u64_u32 v[12:13], null, v19, v3, 0
	;; [unrolled: 1-line block ×3, first 2 shown]
	s_delay_alu instid0(VALU_DEP_3) | instskip(NEXT) | instid1(VALU_DEP_4)
	v_add_co_u32 v3, vcc_lo, v20, v10
	v_add_co_ci_u32_e32 v10, vcc_lo, 0, v11, vcc_lo
	s_delay_alu instid0(VALU_DEP_2) | instskip(NEXT) | instid1(VALU_DEP_2)
	v_add_co_u32 v3, vcc_lo, v3, v12
	v_add_co_ci_u32_e32 v3, vcc_lo, v10, v13, vcc_lo
	v_add_co_ci_u32_e32 v10, vcc_lo, 0, v15, vcc_lo
	s_delay_alu instid0(VALU_DEP_2) | instskip(NEXT) | instid1(VALU_DEP_2)
	v_add_co_u32 v3, vcc_lo, v3, v14
	v_add_co_ci_u32_e32 v12, vcc_lo, 0, v10, vcc_lo
	s_delay_alu instid0(VALU_DEP_2) | instskip(SKIP_1) | instid1(VALU_DEP_3)
	v_mul_lo_u32 v13, s47, v3
	v_mad_u64_u32 v[10:11], null, s46, v3, 0
	v_mul_lo_u32 v14, s46, v12
	s_delay_alu instid0(VALU_DEP_2) | instskip(NEXT) | instid1(VALU_DEP_2)
	v_sub_co_u32 v10, vcc_lo, v16, v10
	v_add3_u32 v11, v11, v14, v13
	s_delay_alu instid0(VALU_DEP_1) | instskip(NEXT) | instid1(VALU_DEP_1)
	v_sub_nc_u32_e32 v13, v19, v11
	v_subrev_co_ci_u32_e64 v13, s0, s47, v13, vcc_lo
	v_add_co_u32 v14, s0, v3, 2
	s_delay_alu instid0(VALU_DEP_1) | instskip(SKIP_3) | instid1(VALU_DEP_3)
	v_add_co_ci_u32_e64 v15, s0, 0, v12, s0
	v_sub_co_u32 v16, s0, v10, s46
	v_sub_co_ci_u32_e32 v11, vcc_lo, v19, v11, vcc_lo
	v_subrev_co_ci_u32_e64 v13, s0, 0, v13, s0
	v_cmp_le_u32_e32 vcc_lo, s46, v16
	s_delay_alu instid0(VALU_DEP_3) | instskip(SKIP_1) | instid1(VALU_DEP_4)
	v_cmp_eq_u32_e64 s0, s47, v11
	v_cndmask_b32_e64 v16, 0, -1, vcc_lo
	v_cmp_le_u32_e32 vcc_lo, s47, v13
	v_cndmask_b32_e64 v17, 0, -1, vcc_lo
	v_cmp_le_u32_e32 vcc_lo, s46, v10
	;; [unrolled: 2-line block ×3, first 2 shown]
	v_cndmask_b32_e64 v19, 0, -1, vcc_lo
	v_cmp_eq_u32_e32 vcc_lo, s47, v13
	s_delay_alu instid0(VALU_DEP_2) | instskip(SKIP_3) | instid1(VALU_DEP_3)
	v_cndmask_b32_e64 v10, v19, v10, s0
	v_cndmask_b32_e32 v13, v17, v16, vcc_lo
	v_add_co_u32 v16, vcc_lo, v3, 1
	v_add_co_ci_u32_e32 v17, vcc_lo, 0, v12, vcc_lo
	v_cmp_ne_u32_e32 vcc_lo, 0, v13
	s_delay_alu instid0(VALU_DEP_2) | instskip(NEXT) | instid1(VALU_DEP_4)
	v_cndmask_b32_e32 v11, v17, v15, vcc_lo
	v_cndmask_b32_e32 v13, v16, v14, vcc_lo
	v_cmp_ne_u32_e32 vcc_lo, 0, v10
	v_xor_b32_e32 v10, s2, v18
	s_delay_alu instid0(VALU_DEP_3) | instskip(SKIP_2) | instid1(VALU_DEP_3)
	v_cndmask_b32_e32 v3, v3, v13, vcc_lo
	v_cndmask_b32_e32 v11, v12, v11, vcc_lo
	v_xor_b32_e32 v13, s3, v18
	v_xor_b32_e32 v3, v3, v10
	s_delay_alu instid0(VALU_DEP_2) | instskip(NEXT) | instid1(VALU_DEP_2)
	v_xor_b32_e32 v11, v11, v13
	v_sub_co_u32 v12, vcc_lo, v3, v10
	s_delay_alu instid0(VALU_DEP_2)
	v_sub_co_ci_u32_e32 v13, vcc_lo, v11, v13, vcc_lo
                                        ; implicit-def: $vgpr10
	s_and_not1_saveexec_b32 s0, s1
	s_cbranch_execz .LBB21_25
.LBB21_27:                              ;   in Loop: Header=BB21_3 Depth=1
	v_cvt_f32_u32_e32 v3, s58
	s_sub_i32 s1, 0, s58
	v_mov_b32_e32 v13, v2
	s_delay_alu instid0(VALU_DEP_2) | instskip(SKIP_2) | instid1(VALU_DEP_1)
	v_rcp_iflag_f32_e32 v3, v3
	s_waitcnt_depctr 0xfff
	v_mul_f32_e32 v3, 0x4f7ffffe, v3
	v_cvt_u32_f32_e32 v3, v3
	s_delay_alu instid0(VALU_DEP_1) | instskip(NEXT) | instid1(VALU_DEP_1)
	v_mul_lo_u32 v11, s1, v3
	v_mul_hi_u32 v11, v3, v11
	s_delay_alu instid0(VALU_DEP_1) | instskip(NEXT) | instid1(VALU_DEP_1)
	v_add_nc_u32_e32 v3, v3, v11
	v_mul_hi_u32 v3, v10, v3
	s_delay_alu instid0(VALU_DEP_1) | instskip(NEXT) | instid1(VALU_DEP_1)
	v_mul_lo_u32 v11, v3, s58
	v_sub_nc_u32_e32 v10, v10, v11
	v_add_nc_u32_e32 v11, 1, v3
	s_delay_alu instid0(VALU_DEP_2) | instskip(SKIP_1) | instid1(VALU_DEP_2)
	v_subrev_nc_u32_e32 v12, s58, v10
	v_cmp_le_u32_e32 vcc_lo, s58, v10
	v_dual_cndmask_b32 v10, v10, v12 :: v_dual_cndmask_b32 v3, v3, v11
	s_delay_alu instid0(VALU_DEP_1) | instskip(NEXT) | instid1(VALU_DEP_2)
	v_cmp_le_u32_e32 vcc_lo, s58, v10
	v_add_nc_u32_e32 v11, 1, v3
	s_delay_alu instid0(VALU_DEP_1) | instskip(SKIP_1) | instid1(SALU_CYCLE_1)
	v_cndmask_b32_e32 v12, v3, v11, vcc_lo
	s_or_b32 exec_lo, exec_lo, s0
	s_and_not1_b32 vcc_lo, exec_lo, s33
	s_cbranch_vccnz .LBB21_2
.LBB21_28:                              ;   in Loop: Header=BB21_3 Depth=1
	v_add_co_u32 v3, vcc_lo, s61, v0
	v_add_co_ci_u32_e32 v14, vcc_lo, s60, v1, vcc_lo
	v_add_co_u32 v10, vcc_lo, v12, 1
	v_add_co_ci_u32_e32 v11, vcc_lo, 0, v13, vcc_lo
	s_delay_alu instid0(VALU_DEP_3)
	v_mul_lo_u32 v16, s30, v14
	v_mul_lo_u32 v17, s31, v3
	v_mad_u64_u32 v[14:15], null, s30, v3, v[6:7]
	v_add_co_u32 v12, vcc_lo, v8, 1
	v_add_co_ci_u32_e32 v13, vcc_lo, 0, v9, vcc_lo
	s_load_b32 s3, s[34:35], 0x4
	v_cmp_gt_i64_e32 vcc_lo, s[30:31], v[10:11]
	s_delay_alu instid0(VALU_DEP_4) | instskip(NEXT) | instid1(VALU_DEP_3)
	v_add3_u32 v15, v17, v15, v16
	v_cmp_gt_i64_e64 s0, s[28:29], v[12:13]
	v_lshlrev_b64 v[16:17], 2, v[4:5]
	v_cndmask_b32_e32 v9, s31, v11, vcc_lo
	v_cndmask_b32_e32 v8, s30, v10, vcc_lo
	s_delay_alu instid0(VALU_DEP_4)
	v_cndmask_b32_e64 v11, s29, v13, s0
	v_cndmask_b32_e64 v10, s28, v12, s0
	v_lshlrev_b64 v[12:13], 3, v[14:15]
	v_add_co_u32 v3, vcc_lo, s36, v16
	v_lshlrev_b64 v[14:15], 2, v[14:15]
	v_add_co_ci_u32_e32 v33, vcc_lo, s37, v17, vcc_lo
	s_delay_alu instid0(VALU_DEP_4) | instskip(SKIP_1) | instid1(VALU_DEP_4)
	v_add_co_u32 v12, vcc_lo, s18, v12
	v_add_co_ci_u32_e32 v13, vcc_lo, s19, v13, vcc_lo
	v_add_co_u32 v14, vcc_lo, s16, v14
	v_cmp_lt_i64_e64 s0, v[0:1], v[10:11]
	v_cmp_lt_i64_e64 s1, v[6:7], v[8:9]
	s_waitcnt lgkmcnt(0)
	s_mul_i32 s2, s9, s3
	s_mul_hi_u32 s46, s8, s3
	v_add_co_ci_u32_e32 v15, vcc_lo, s17, v15, vcc_lo
	s_add_i32 s63, s46, s2
	s_mul_i32 s2, s41, s3
	s_mul_hi_u32 s46, s40, s3
	s_mul_i32 s64, s8, s3
	s_add_i32 s65, s46, s2
	s_mul_i32 s66, s40, s3
	s_mov_b64 s[46:47], s[14:15]
	s_branch .LBB21_30
.LBB21_29:                              ;   in Loop: Header=BB21_30 Depth=2
	s_add_u32 s46, s46, s3
	s_addc_u32 s47, s47, 0
	v_add_co_u32 v12, vcc_lo, v12, s64
	v_cmp_ge_i64_e64 s2, s[46:47], s[20:21]
	v_add_co_ci_u32_e32 v13, vcc_lo, s63, v13, vcc_lo
	v_add_co_u32 v14, vcc_lo, v14, s66
	v_add_co_ci_u32_e32 v15, vcc_lo, s65, v15, vcc_lo
	s_delay_alu instid0(VALU_DEP_4)
	s_and_b32 vcc_lo, exec_lo, s2
	s_cbranch_vccnz .LBB21_2
.LBB21_30:                              ;   Parent Loop BB21_3 Depth=1
                                        ; =>  This Loop Header: Depth=2
                                        ;       Child Loop BB21_34 Depth 3
                                        ;         Child Loop BB21_38 Depth 4
                                        ;           Child Loop BB21_41 Depth 5
	s_and_not1_b32 vcc_lo, exec_lo, s50
	s_cbranch_vccnz .LBB21_29
; %bb.31:                               ;   in Loop: Header=BB21_30 Depth=2
	s_load_b32 s67, s[34:35], 0x8
	s_mul_i32 s2, s46, s23
	s_mul_hi_u32 s48, s46, s22
	s_mul_i32 s49, s47, s22
	s_add_i32 s2, s48, s2
	v_dual_mov_b32 v17, v15 :: v_dual_mov_b32 v16, v14
	v_dual_mov_b32 v19, v13 :: v_dual_mov_b32 v18, v12
	s_add_i32 s69, s2, s49
	s_mul_i32 s68, s46, s22
	s_waitcnt lgkmcnt(0)
	s_mul_i32 s2, s11, s67
	s_mul_hi_u32 s48, s10, s67
	s_mul_i32 s49, s43, s67
	s_mul_hi_u32 s73, s42, s67
	s_mul_i32 s70, s10, s67
	s_mul_i32 s71, s42, s67
	s_add_i32 s72, s48, s2
	s_add_i32 s73, s73, s49
	s_mov_b64 s[48:49], s[12:13]
	s_branch .LBB21_34
.LBB21_32:                              ;   in Loop: Header=BB21_34 Depth=3
	s_or_b32 exec_lo, exec_lo, s75
.LBB21_33:                              ;   in Loop: Header=BB21_34 Depth=3
	s_delay_alu instid0(SALU_CYCLE_1)
	s_or_b32 exec_lo, exec_lo, s74
	s_add_u32 s2, s48, s68
	s_addc_u32 s74, s49, s69
	s_mul_hi_u32 s75, s24, s2
	s_mul_i32 s74, s24, s74
	s_mul_i32 s76, s25, s2
	s_add_i32 s75, s75, s74
	s_mul_i32 s74, s24, s2
	s_add_i32 s75, s75, s76
	s_delay_alu instid0(SALU_CYCLE_1)
	s_lshl_b64 s[74:75], s[74:75], 2
	s_add_u32 s48, s48, s67
	v_add_co_u32 v20, vcc_lo, v3, s74
	v_add_co_ci_u32_e32 v21, vcc_lo, s75, v33, vcc_lo
	s_addc_u32 s49, s49, 0
	v_add_co_u32 v18, vcc_lo, v18, s70
	v_cmp_ge_i64_e64 s2, s[48:49], s[22:23]
	v_add_co_ci_u32_e32 v19, vcc_lo, s72, v19, vcc_lo
	v_add_co_u32 v16, vcc_lo, v16, s71
	v_add_co_ci_u32_e32 v17, vcc_lo, s73, v17, vcc_lo
	s_delay_alu instid0(VALU_DEP_4)
	s_and_b32 vcc_lo, exec_lo, s2
	global_store_b32 v[20:21], v34, off
	s_cbranch_vccnz .LBB21_29
.LBB21_34:                              ;   Parent Loop BB21_3 Depth=1
                                        ;     Parent Loop BB21_30 Depth=2
                                        ; =>    This Loop Header: Depth=3
                                        ;         Child Loop BB21_38 Depth 4
                                        ;           Child Loop BB21_41 Depth 5
	v_mov_b32_e32 v34, 0
	s_and_saveexec_b32 s74, s0
	s_cbranch_execz .LBB21_33
; %bb.35:                               ;   in Loop: Header=BB21_34 Depth=3
	v_dual_mov_b32 v34, 0 :: v_dual_mov_b32 v21, v17
	v_dual_mov_b32 v20, v16 :: v_dual_mov_b32 v23, v19
	;; [unrolled: 1-line block ×3, first 2 shown]
	v_mov_b32_e32 v24, v0
	s_mov_b32 s75, 0
	s_branch .LBB21_38
.LBB21_36:                              ;   in Loop: Header=BB21_38 Depth=4
	s_set_inst_prefetch_distance 0x2
	s_or_b32 exec_lo, exec_lo, s77
.LBB21_37:                              ;   in Loop: Header=BB21_38 Depth=4
	s_delay_alu instid0(SALU_CYCLE_1) | instskip(SKIP_4) | instid1(VALU_DEP_3)
	s_or_b32 exec_lo, exec_lo, s76
	v_add_co_u32 v24, vcc_lo, v24, 1
	v_add_co_ci_u32_e32 v25, vcc_lo, 0, v25, vcc_lo
	v_add_co_u32 v22, vcc_lo, v22, s38
	v_add_co_ci_u32_e32 v23, vcc_lo, s39, v23, vcc_lo
	v_cmp_ge_i64_e32 vcc_lo, v[24:25], v[10:11]
	v_add_co_u32 v20, s2, v20, s44
	s_delay_alu instid0(VALU_DEP_1) | instskip(SKIP_1) | instid1(SALU_CYCLE_1)
	v_add_co_ci_u32_e64 v21, s2, s45, v21, s2
	s_or_b32 s75, vcc_lo, s75
	s_and_not1_b32 exec_lo, exec_lo, s75
	s_cbranch_execz .LBB21_32
.LBB21_38:                              ;   Parent Loop BB21_3 Depth=1
                                        ;     Parent Loop BB21_30 Depth=2
                                        ;       Parent Loop BB21_34 Depth=3
                                        ; =>      This Loop Header: Depth=4
                                        ;           Child Loop BB21_41 Depth 5
	s_and_saveexec_b32 s76, s1
	s_cbranch_execz .LBB21_37
; %bb.39:                               ;   in Loop: Header=BB21_38 Depth=4
	v_dual_mov_b32 v27, v21 :: v_dual_mov_b32 v26, v20
	v_dual_mov_b32 v29, v23 :: v_dual_mov_b32 v28, v22
	v_dual_mov_b32 v31, v7 :: v_dual_mov_b32 v30, v6
	s_mov_b32 s77, 0
	s_set_inst_prefetch_distance 0x1
	s_branch .LBB21_41
	.p2align	6
.LBB21_40:                              ;   in Loop: Header=BB21_41 Depth=5
	s_or_b32 exec_lo, exec_lo, s2
	v_add_co_u32 v30, vcc_lo, v30, 1
	v_add_co_ci_u32_e32 v31, vcc_lo, 0, v31, vcc_lo
	v_add_co_u32 v28, vcc_lo, v28, 8
	v_add_co_ci_u32_e32 v29, vcc_lo, 0, v29, vcc_lo
	s_delay_alu instid0(VALU_DEP_3) | instskip(SKIP_1) | instid1(VALU_DEP_1)
	v_cmp_ge_i64_e32 vcc_lo, v[30:31], v[8:9]
	v_add_co_u32 v26, s2, v26, 4
	v_add_co_ci_u32_e64 v27, s2, 0, v27, s2
	s_or_b32 s77, vcc_lo, s77
	s_delay_alu instid0(SALU_CYCLE_1)
	s_and_not1_b32 exec_lo, exec_lo, s77
	s_cbranch_execz .LBB21_36
.LBB21_41:                              ;   Parent Loop BB21_3 Depth=1
                                        ;     Parent Loop BB21_30 Depth=2
                                        ;       Parent Loop BB21_34 Depth=3
                                        ;         Parent Loop BB21_38 Depth=4
                                        ; =>        This Inner Loop Header: Depth=5
	global_load_b64 v[35:36], v[28:29], off
	s_mov_b32 s2, exec_lo
	s_waitcnt vmcnt(0)
	v_cmpx_eq_u64_e64 v[35:36], v[4:5]
	s_cbranch_execz .LBB21_40
; %bb.42:                               ;   in Loop: Header=BB21_41 Depth=5
	global_load_b32 v35, v[26:27], off
	s_waitcnt vmcnt(0)
	v_add_f32_e32 v34, v34, v35
	s_branch .LBB21_40
.LBB21_43:
	s_nop 0
	s_sendmsg sendmsg(MSG_DEALLOC_VGPRS)
	s_endpgm
	.section	.rodata,"a",@progbits
	.p2align	6, 0x0
	.amdhsa_kernel _ZN2at6native12_GLOBAL__N_122max_pool_backward_nchwIfflEEvPKT_PKlT1_S8_S8_S8_S8_S8_iiiiiiiiPS3_
		.amdhsa_group_segment_fixed_size 0
		.amdhsa_private_segment_fixed_size 0
		.amdhsa_kernarg_size 360
		.amdhsa_user_sgpr_count 13
		.amdhsa_user_sgpr_dispatch_ptr 0
		.amdhsa_user_sgpr_queue_ptr 0
		.amdhsa_user_sgpr_kernarg_segment_ptr 1
		.amdhsa_user_sgpr_dispatch_id 0
		.amdhsa_user_sgpr_private_segment_size 0
		.amdhsa_wavefront_size32 1
		.amdhsa_uses_dynamic_stack 0
		.amdhsa_enable_private_segment 0
		.amdhsa_system_sgpr_workgroup_id_x 1
		.amdhsa_system_sgpr_workgroup_id_y 1
		.amdhsa_system_sgpr_workgroup_id_z 1
		.amdhsa_system_sgpr_workgroup_info 0
		.amdhsa_system_vgpr_workitem_id 0
		.amdhsa_next_free_vgpr 37
		.amdhsa_next_free_sgpr 78
		.amdhsa_reserve_vcc 1
		.amdhsa_float_round_mode_32 0
		.amdhsa_float_round_mode_16_64 0
		.amdhsa_float_denorm_mode_32 3
		.amdhsa_float_denorm_mode_16_64 3
		.amdhsa_dx10_clamp 1
		.amdhsa_ieee_mode 1
		.amdhsa_fp16_overflow 0
		.amdhsa_workgroup_processor_mode 1
		.amdhsa_memory_ordered 1
		.amdhsa_forward_progress 0
		.amdhsa_shared_vgpr_count 0
		.amdhsa_exception_fp_ieee_invalid_op 0
		.amdhsa_exception_fp_denorm_src 0
		.amdhsa_exception_fp_ieee_div_zero 0
		.amdhsa_exception_fp_ieee_overflow 0
		.amdhsa_exception_fp_ieee_underflow 0
		.amdhsa_exception_fp_ieee_inexact 0
		.amdhsa_exception_int_div_zero 0
	.end_amdhsa_kernel
	.section	.text._ZN2at6native12_GLOBAL__N_122max_pool_backward_nchwIfflEEvPKT_PKlT1_S8_S8_S8_S8_S8_iiiiiiiiPS3_,"axG",@progbits,_ZN2at6native12_GLOBAL__N_122max_pool_backward_nchwIfflEEvPKT_PKlT1_S8_S8_S8_S8_S8_iiiiiiiiPS3_,comdat
.Lfunc_end21:
	.size	_ZN2at6native12_GLOBAL__N_122max_pool_backward_nchwIfflEEvPKT_PKlT1_S8_S8_S8_S8_S8_iiiiiiiiPS3_, .Lfunc_end21-_ZN2at6native12_GLOBAL__N_122max_pool_backward_nchwIfflEEvPKT_PKlT1_S8_S8_S8_S8_S8_iiiiiiiiPS3_
                                        ; -- End function
	.section	.AMDGPU.csdata,"",@progbits
; Kernel info:
; codeLenInByte = 6420
; NumSgprs: 80
; NumVgprs: 37
; ScratchSize: 0
; MemoryBound: 0
; FloatMode: 240
; IeeeMode: 1
; LDSByteSize: 0 bytes/workgroup (compile time only)
; SGPRBlocks: 9
; VGPRBlocks: 4
; NumSGPRsForWavesPerEU: 80
; NumVGPRsForWavesPerEU: 37
; Occupancy: 16
; WaveLimiterHint : 0
; COMPUTE_PGM_RSRC2:SCRATCH_EN: 0
; COMPUTE_PGM_RSRC2:USER_SGPR: 13
; COMPUTE_PGM_RSRC2:TRAP_HANDLER: 0
; COMPUTE_PGM_RSRC2:TGID_X_EN: 1
; COMPUTE_PGM_RSRC2:TGID_Y_EN: 1
; COMPUTE_PGM_RSRC2:TGID_Z_EN: 1
; COMPUTE_PGM_RSRC2:TIDIG_COMP_CNT: 0
	.section	.text._ZN2at6native12_GLOBAL__N_122max_pool_backward_nhwcIN3c104HalfEfEEvPKT_PKlillliiiiiiiiiiiiiiiPS5_,"axG",@progbits,_ZN2at6native12_GLOBAL__N_122max_pool_backward_nhwcIN3c104HalfEfEEvPKT_PKlillliiiiiiiiiiiiiiiPS5_,comdat
	.globl	_ZN2at6native12_GLOBAL__N_122max_pool_backward_nhwcIN3c104HalfEfEEvPKT_PKlillliiiiiiiiiiiiiiiPS5_ ; -- Begin function _ZN2at6native12_GLOBAL__N_122max_pool_backward_nhwcIN3c104HalfEfEEvPKT_PKlillliiiiiiiiiiiiiiiPS5_
	.p2align	8
	.type	_ZN2at6native12_GLOBAL__N_122max_pool_backward_nhwcIN3c104HalfEfEEvPKT_PKlillliiiiiiiiiiiiiiiPS5_,@function
_ZN2at6native12_GLOBAL__N_122max_pool_backward_nhwcIN3c104HalfEfEEvPKT_PKlillliiiiiiiiiiiiiiiPS5_: ; @_ZN2at6native12_GLOBAL__N_122max_pool_backward_nhwcIN3c104HalfEfEEvPKT_PKlillliiiiiiiiiiiiiiiPS5_
; %bb.0:
	s_clause 0x3
	s_load_b32 s33, s[0:1], 0x10
	s_load_b128 s[28:31], s[0:1], 0x7c
	s_load_b256 s[4:11], s[0:1], 0x50
	s_load_b256 s[16:23], s[0:1], 0x30
	v_bfe_u32 v3, v0, 10, 10
	v_bfe_u32 v2, v0, 20, 10
	v_and_b32_e32 v6, 0x3ff, v0
	s_waitcnt lgkmcnt(0)
	v_cvt_f32_u32_e32 v1, s33
	s_lshr_b32 s11, s30, 16
	s_and_b32 s35, s30, 0xffff
	v_mad_u32_u24 v9, v2, s11, v3
	s_sub_i32 s24, 0, s33
	v_rcp_iflag_f32_e32 v1, v1
	s_mul_i32 s2, s35, s10
	s_and_b32 s12, s31, 0xffff
	s_mul_i32 s2, s2, s11
	s_delay_alu instid0(SALU_CYCLE_1) | instskip(SKIP_2) | instid1(VALU_DEP_1)
	s_mul_i32 s2, s2, s12
	s_waitcnt_depctr 0xfff
	v_mul_f32_e32 v1, 0x4f7ffffe, v1
	v_cvt_u32_f32_e32 v4, v1
	v_mad_u64_u32 v[0:1], null, v9, s35, v[6:7]
	s_delay_alu instid0(VALU_DEP_2) | instskip(NEXT) | instid1(VALU_DEP_1)
	v_readfirstlane_b32 s3, v4
	s_mul_i32 s24, s24, s3
	s_delay_alu instid0(SALU_CYCLE_1) | instskip(NEXT) | instid1(SALU_CYCLE_1)
	s_mul_hi_u32 s24, s3, s24
	s_add_i32 s24, s3, s24
	s_mov_b32 s3, 0
	s_mul_hi_u32 s34, s13, s24
	s_mov_b32 s24, exec_lo
	v_cmpx_gt_u32_e64 s2, v0
	s_cbranch_execz .LBB22_3
; %bb.1:
	s_mul_i32 s25, s11, s35
	v_lshl_add_u32 v1, v0, 2, 0
	v_mov_b32_e32 v4, 0
	s_mul_i32 s25, s25, s12
	s_delay_alu instid0(SALU_CYCLE_1)
	s_lshl_b32 s26, s25, 2
.LBB22_2:                               ; =>This Inner Loop Header: Depth=1
	v_add_nc_u32_e32 v0, s25, v0
	ds_store_b32 v1, v4
	v_add_nc_u32_e32 v1, s26, v1
	v_cmp_le_u32_e32 vcc_lo, s2, v0
	s_or_b32 s3, vcc_lo, s3
	s_delay_alu instid0(SALU_CYCLE_1)
	s_and_not1_b32 exec_lo, exec_lo, s3
	s_cbranch_execnz .LBB22_2
.LBB22_3:
	s_or_b32 exec_lo, exec_lo, s24
	s_clause 0x1
	s_load_b128 s[24:27], s[0:1], 0x18
	s_load_b64 s[30:31], s[0:1], 0x28
	v_cvt_f32_ubyte0_e32 v0, 0
	s_mov_b32 s2, 0
	s_waitcnt lgkmcnt(0)
	s_barrier
	buffer_gl0_inv
	s_add_u32 s3, s26, s29
	s_addc_u32 s37, s27, 0
	s_add_u32 s36, s3, -1
	s_addc_u32 s3, s37, -1
	s_delay_alu instid0(SALU_CYCLE_1)
	s_cmp_lg_u64 s[2:3], 0
	s_cbranch_scc0 .LBB22_60
; %bb.4:
	v_cvt_f32_u32_e32 v1, s29
	s_sub_u32 s39, 0, s29
	s_subb_u32 s40, 0, 0
	s_delay_alu instid0(VALU_DEP_1) | instskip(NEXT) | instid1(VALU_DEP_1)
	v_fmamk_f32 v1, v0, 0x4f800000, v1
	v_rcp_f32_e32 v1, v1
	s_waitcnt_depctr 0xfff
	v_mul_f32_e32 v1, 0x5f7ffffc, v1
	s_delay_alu instid0(VALU_DEP_1) | instskip(NEXT) | instid1(VALU_DEP_1)
	v_mul_f32_e32 v4, 0x2f800000, v1
	v_trunc_f32_e32 v4, v4
	s_delay_alu instid0(VALU_DEP_1) | instskip(SKIP_1) | instid1(VALU_DEP_2)
	v_fmamk_f32 v1, v4, 0xcf800000, v1
	v_cvt_u32_f32_e32 v4, v4
	v_cvt_u32_f32_e32 v1, v1
	s_delay_alu instid0(VALU_DEP_2) | instskip(NEXT) | instid1(VALU_DEP_2)
	v_readfirstlane_b32 s37, v4
	v_readfirstlane_b32 s38, v1
	s_delay_alu instid0(VALU_DEP_2) | instskip(NEXT) | instid1(VALU_DEP_1)
	s_mul_i32 s41, s39, s37
	s_mul_hi_u32 s43, s39, s38
	s_mul_i32 s42, s40, s38
	s_add_i32 s41, s43, s41
	s_mul_i32 s44, s39, s38
	s_add_i32 s41, s41, s42
	s_mul_hi_u32 s43, s38, s44
	s_mul_hi_u32 s45, s37, s44
	s_mul_i32 s42, s37, s44
	s_mul_hi_u32 s44, s38, s41
	s_mul_i32 s38, s38, s41
	s_mul_hi_u32 s46, s37, s41
	s_add_u32 s38, s43, s38
	s_addc_u32 s43, 0, s44
	s_add_u32 s38, s38, s42
	s_mul_i32 s41, s37, s41
	s_addc_u32 s38, s43, s45
	s_addc_u32 s42, s46, 0
	s_add_u32 s38, s38, s41
	s_addc_u32 s41, 0, s42
	v_add_co_u32 v1, s38, v1, s38
	s_delay_alu instid0(VALU_DEP_1) | instskip(SKIP_1) | instid1(VALU_DEP_1)
	s_cmp_lg_u32 s38, 0
	s_addc_u32 s37, s37, s41
	v_readfirstlane_b32 s38, v1
	s_mul_i32 s41, s39, s37
	s_delay_alu instid0(VALU_DEP_1)
	s_mul_hi_u32 s42, s39, s38
	s_mul_i32 s40, s40, s38
	s_add_i32 s41, s42, s41
	s_mul_i32 s39, s39, s38
	s_add_i32 s41, s41, s40
	s_mul_hi_u32 s42, s37, s39
	s_mul_i32 s43, s37, s39
	s_mul_hi_u32 s39, s38, s39
	s_mul_hi_u32 s44, s38, s41
	s_mul_i32 s38, s38, s41
	s_mul_hi_u32 s40, s37, s41
	s_add_u32 s38, s39, s38
	s_addc_u32 s39, 0, s44
	s_add_u32 s38, s38, s43
	s_mul_i32 s41, s37, s41
	s_addc_u32 s38, s39, s42
	s_addc_u32 s39, s40, 0
	s_add_u32 s38, s38, s41
	s_addc_u32 s39, 0, s39
	v_add_co_u32 v1, s38, v1, s38
	s_delay_alu instid0(VALU_DEP_1) | instskip(SKIP_2) | instid1(SALU_CYCLE_1)
	s_cmp_lg_u32 s38, 0
	s_addc_u32 s37, s37, s39
	s_ashr_i32 s38, s3, 31
	s_add_u32 s40, s36, s38
	s_addc_u32 s41, s3, s38
	v_readfirstlane_b32 s3, v1
	s_mov_b32 s39, s38
	s_delay_alu instid0(SALU_CYCLE_1) | instskip(NEXT) | instid1(SALU_CYCLE_1)
	s_xor_b64 s[40:41], s[40:41], s[38:39]
	s_mul_i32 s42, s40, s37
	s_delay_alu instid0(VALU_DEP_1)
	s_mul_hi_u32 s43, s40, s3
	s_mul_hi_u32 s39, s40, s37
	;; [unrolled: 1-line block ×3, first 2 shown]
	s_mul_i32 s3, s41, s3
	s_add_u32 s42, s43, s42
	s_addc_u32 s39, 0, s39
	s_mul_hi_u32 s44, s41, s37
	s_add_u32 s3, s42, s3
	s_mul_i32 s37, s41, s37
	s_addc_u32 s3, s39, s45
	s_addc_u32 s39, s44, 0
	s_add_u32 s3, s3, s37
	s_addc_u32 s37, 0, s39
	s_mul_i32 s43, s29, s3
	s_mul_hi_u32 s42, s29, s3
	v_sub_co_u32 v1, s40, s40, s43
	s_mul_i32 s37, s29, s37
	s_add_u32 s39, s3, 1
	s_add_i32 s42, s42, s37
	s_delay_alu instid0(VALU_DEP_1) | instskip(SKIP_3) | instid1(VALU_DEP_2)
	v_sub_co_u32 v4, s37, v1, s29
	s_add_u32 s43, s3, 2
	s_cmp_lg_u32 s40, 0
	v_mov_b32_e32 v5, s43
	v_cmp_le_u32_e32 vcc_lo, s29, v4
	s_subb_u32 s40, s41, s42
	s_cmp_lg_u32 s37, 0
	s_subb_u32 s37, s40, 0
	v_cndmask_b32_e64 v4, 0, -1, vcc_lo
	v_cmp_le_u32_e32 vcc_lo, s29, v1
	s_cmp_eq_u32 s37, 0
	v_cndmask_b32_e64 v1, 0, -1, vcc_lo
	s_cselect_b32 vcc_lo, -1, 0
	s_cmp_eq_u32 s40, 0
	v_cndmask_b32_e32 v4, -1, v4, vcc_lo
	s_cselect_b32 vcc_lo, -1, 0
	v_cndmask_b32_e32 v1, -1, v1, vcc_lo
	s_delay_alu instid0(VALU_DEP_2) | instskip(SKIP_1) | instid1(VALU_DEP_3)
	v_cmp_ne_u32_e32 vcc_lo, 0, v4
	v_cndmask_b32_e32 v4, s39, v5, vcc_lo
	v_cmp_ne_u32_e32 vcc_lo, 0, v1
	s_delay_alu instid0(VALU_DEP_2) | instskip(NEXT) | instid1(VALU_DEP_1)
	v_cndmask_b32_e32 v1, s3, v4, vcc_lo
	v_xor_b32_e32 v1, s38, v1
	s_delay_alu instid0(VALU_DEP_1)
	v_sub_co_u32 v4, vcc_lo, v1, s38
	s_and_not1_b32 vcc_lo, exec_lo, s2
	s_cbranch_vccnz .LBB22_6
.LBB22_5:
	v_cvt_f32_u32_e32 v1, s29
	s_sub_i32 s3, 0, s29
	s_delay_alu instid0(VALU_DEP_1) | instskip(SKIP_2) | instid1(VALU_DEP_1)
	v_rcp_iflag_f32_e32 v1, v1
	s_waitcnt_depctr 0xfff
	v_mul_f32_e32 v1, 0x4f7ffffe, v1
	v_cvt_u32_f32_e32 v1, v1
	s_delay_alu instid0(VALU_DEP_1) | instskip(NEXT) | instid1(VALU_DEP_1)
	v_readfirstlane_b32 s2, v1
	s_mul_i32 s3, s3, s2
	s_delay_alu instid0(SALU_CYCLE_1) | instskip(NEXT) | instid1(SALU_CYCLE_1)
	s_mul_hi_u32 s3, s2, s3
	s_add_i32 s2, s2, s3
	s_delay_alu instid0(SALU_CYCLE_1) | instskip(NEXT) | instid1(SALU_CYCLE_1)
	s_mul_hi_u32 s2, s36, s2
	s_mul_i32 s3, s2, s29
	s_delay_alu instid0(SALU_CYCLE_1)
	s_sub_i32 s3, s36, s3
	s_add_i32 s36, s2, 1
	s_sub_i32 s37, s3, s29
	s_cmp_ge_u32 s3, s29
	s_cselect_b32 s2, s36, s2
	s_cselect_b32 s3, s37, s3
	s_add_i32 s36, s2, 1
	s_cmp_ge_u32 s3, s29
	s_mov_b32 s3, 0
	s_cselect_b32 s2, s36, s2
	s_delay_alu instid0(SALU_CYCLE_1)
	v_dual_mov_b32 v5, s3 :: v_dual_mov_b32 v4, s2
.LBB22_6:
	s_add_u32 s3, s30, s28
	s_addc_u32 s36, s31, 0
	s_add_u32 s29, s3, -1
	s_mov_b32 s2, 0
	s_addc_u32 s3, s36, -1
	s_delay_alu instid0(SALU_CYCLE_1)
	s_cmp_lg_u64 s[2:3], 0
	s_cbranch_scc0 .LBB22_61
; %bb.7:
	v_cvt_f32_u32_e32 v1, s28
	s_sub_u32 s38, 0, s28
	s_subb_u32 s39, 0, 0
	s_delay_alu instid0(VALU_DEP_1) | instskip(NEXT) | instid1(VALU_DEP_1)
	v_fmamk_f32 v0, v0, 0x4f800000, v1
	v_rcp_f32_e32 v0, v0
	s_waitcnt_depctr 0xfff
	v_mul_f32_e32 v0, 0x5f7ffffc, v0
	s_delay_alu instid0(VALU_DEP_1) | instskip(NEXT) | instid1(VALU_DEP_1)
	v_mul_f32_e32 v1, 0x2f800000, v0
	v_trunc_f32_e32 v1, v1
	s_delay_alu instid0(VALU_DEP_1) | instskip(SKIP_1) | instid1(VALU_DEP_2)
	v_fmamk_f32 v0, v1, 0xcf800000, v0
	v_cvt_u32_f32_e32 v1, v1
	v_cvt_u32_f32_e32 v0, v0
	s_delay_alu instid0(VALU_DEP_2) | instskip(NEXT) | instid1(VALU_DEP_2)
	v_readfirstlane_b32 s36, v1
	v_readfirstlane_b32 s37, v0
	s_delay_alu instid0(VALU_DEP_2) | instskip(NEXT) | instid1(VALU_DEP_1)
	s_mul_i32 s40, s38, s36
	s_mul_hi_u32 s42, s38, s37
	s_mul_i32 s41, s39, s37
	s_add_i32 s40, s42, s40
	s_mul_i32 s43, s38, s37
	s_add_i32 s40, s40, s41
	s_mul_hi_u32 s42, s37, s43
	s_mul_hi_u32 s44, s36, s43
	s_mul_i32 s41, s36, s43
	s_mul_hi_u32 s43, s37, s40
	s_mul_i32 s37, s37, s40
	s_mul_hi_u32 s45, s36, s40
	s_add_u32 s37, s42, s37
	s_addc_u32 s42, 0, s43
	s_add_u32 s37, s37, s41
	s_mul_i32 s40, s36, s40
	s_addc_u32 s37, s42, s44
	s_addc_u32 s41, s45, 0
	s_add_u32 s37, s37, s40
	s_addc_u32 s40, 0, s41
	v_add_co_u32 v0, s37, v0, s37
	s_delay_alu instid0(VALU_DEP_1) | instskip(SKIP_1) | instid1(VALU_DEP_1)
	s_cmp_lg_u32 s37, 0
	s_addc_u32 s36, s36, s40
	v_readfirstlane_b32 s37, v0
	s_mul_i32 s40, s38, s36
	s_delay_alu instid0(VALU_DEP_1)
	s_mul_hi_u32 s41, s38, s37
	s_mul_i32 s39, s39, s37
	s_add_i32 s40, s41, s40
	s_mul_i32 s38, s38, s37
	s_add_i32 s40, s40, s39
	s_mul_hi_u32 s41, s36, s38
	s_mul_i32 s42, s36, s38
	s_mul_hi_u32 s38, s37, s38
	s_mul_hi_u32 s43, s37, s40
	s_mul_i32 s37, s37, s40
	s_mul_hi_u32 s39, s36, s40
	s_add_u32 s37, s38, s37
	s_addc_u32 s38, 0, s43
	s_add_u32 s37, s37, s42
	s_mul_i32 s40, s36, s40
	s_addc_u32 s37, s38, s41
	s_addc_u32 s38, s39, 0
	s_add_u32 s37, s37, s40
	s_addc_u32 s38, 0, s38
	v_add_co_u32 v0, s37, v0, s37
	s_delay_alu instid0(VALU_DEP_1) | instskip(SKIP_2) | instid1(SALU_CYCLE_1)
	s_cmp_lg_u32 s37, 0
	s_addc_u32 s40, s36, s38
	s_ashr_i32 s36, s3, 31
	s_add_u32 s38, s29, s36
	s_addc_u32 s39, s3, s36
	v_readfirstlane_b32 s3, v0
	s_mov_b32 s37, s36
	s_delay_alu instid0(SALU_CYCLE_1) | instskip(NEXT) | instid1(SALU_CYCLE_1)
	s_xor_b64 s[38:39], s[38:39], s[36:37]
	s_mul_i32 s41, s38, s40
	s_delay_alu instid0(VALU_DEP_1)
	s_mul_hi_u32 s42, s38, s3
	s_mul_hi_u32 s37, s38, s40
	;; [unrolled: 1-line block ×3, first 2 shown]
	s_mul_i32 s3, s39, s3
	s_add_u32 s41, s42, s41
	s_addc_u32 s37, 0, s37
	s_mul_hi_u32 s43, s39, s40
	s_add_u32 s3, s41, s3
	s_mul_i32 s40, s39, s40
	s_addc_u32 s3, s37, s44
	s_addc_u32 s37, s43, 0
	s_add_u32 s3, s3, s40
	s_addc_u32 s37, 0, s37
	s_mul_i32 s42, s28, s3
	s_mul_hi_u32 s41, s28, s3
	v_sub_co_u32 v0, s38, s38, s42
	s_mul_i32 s37, s28, s37
	s_add_u32 s40, s3, 1
	s_add_i32 s41, s41, s37
	s_delay_alu instid0(VALU_DEP_1) | instskip(SKIP_3) | instid1(VALU_DEP_2)
	v_sub_co_u32 v1, s37, v0, s28
	s_add_u32 s42, s3, 2
	s_cmp_lg_u32 s38, 0
	v_mov_b32_e32 v5, s42
	v_cmp_le_u32_e32 vcc_lo, s28, v1
	s_subb_u32 s38, s39, s41
	s_cmp_lg_u32 s37, 0
	s_subb_u32 s37, s38, 0
	v_cndmask_b32_e64 v1, 0, -1, vcc_lo
	v_cmp_le_u32_e32 vcc_lo, s28, v0
	s_cmp_eq_u32 s37, 0
	v_cndmask_b32_e64 v0, 0, -1, vcc_lo
	s_cselect_b32 vcc_lo, -1, 0
	s_cmp_eq_u32 s38, 0
	v_cndmask_b32_e32 v1, -1, v1, vcc_lo
	s_cselect_b32 vcc_lo, -1, 0
	v_cndmask_b32_e32 v0, -1, v0, vcc_lo
	s_delay_alu instid0(VALU_DEP_2) | instskip(SKIP_1) | instid1(VALU_DEP_3)
	v_cmp_ne_u32_e32 vcc_lo, 0, v1
	v_cndmask_b32_e32 v1, s40, v5, vcc_lo
	v_cmp_ne_u32_e32 vcc_lo, 0, v0
	s_delay_alu instid0(VALU_DEP_2) | instskip(NEXT) | instid1(VALU_DEP_1)
	v_cndmask_b32_e32 v0, s3, v1, vcc_lo
	v_xor_b32_e32 v0, s36, v0
	s_delay_alu instid0(VALU_DEP_1)
	v_sub_co_u32 v7, vcc_lo, v0, s36
	s_and_not1_b32 vcc_lo, exec_lo, s2
	s_cbranch_vccnz .LBB22_9
.LBB22_8:
	v_cvt_f32_u32_e32 v0, s28
	s_sub_i32 s3, 0, s28
	s_delay_alu instid0(VALU_DEP_1) | instskip(SKIP_2) | instid1(VALU_DEP_1)
	v_rcp_iflag_f32_e32 v0, v0
	s_waitcnt_depctr 0xfff
	v_mul_f32_e32 v0, 0x4f7ffffe, v0
	v_cvt_u32_f32_e32 v0, v0
	s_delay_alu instid0(VALU_DEP_1) | instskip(NEXT) | instid1(VALU_DEP_1)
	v_readfirstlane_b32 s2, v0
	s_mul_i32 s3, s3, s2
	s_delay_alu instid0(SALU_CYCLE_1) | instskip(NEXT) | instid1(SALU_CYCLE_1)
	s_mul_hi_u32 s3, s2, s3
	s_add_i32 s2, s2, s3
	s_delay_alu instid0(SALU_CYCLE_1) | instskip(NEXT) | instid1(SALU_CYCLE_1)
	s_mul_hi_u32 s2, s29, s2
	s_mul_i32 s3, s2, s28
	s_delay_alu instid0(SALU_CYCLE_1)
	s_sub_i32 s3, s29, s3
	s_add_i32 s29, s2, 1
	s_sub_i32 s36, s3, s28
	s_cmp_ge_u32 s3, s28
	s_cselect_b32 s2, s29, s2
	s_cselect_b32 s3, s36, s3
	s_add_i32 s29, s2, 1
	s_cmp_ge_u32 s3, s28
	s_mov_b32 s3, 0
	s_cselect_b32 s2, s29, s2
	s_delay_alu instid0(SALU_CYCLE_1)
	v_dual_mov_b32 v8, s3 :: v_dual_mov_b32 v7, s2
.LBB22_9:
	v_mad_u64_u32 v[0:1], null, s15, v4, v[2:3]
	v_ashrrev_i32_e32 v2, 31, v4
	s_mov_b32 s2, exec_lo
	s_delay_alu instid0(VALU_DEP_2) | instskip(SKIP_1) | instid1(VALU_DEP_2)
	v_ashrrev_i32_e32 v5, 31, v0
	v_add_co_u32 v1, vcc_lo, v4, v0
	v_add_co_ci_u32_e32 v2, vcc_lo, v2, v5, vcc_lo
	s_delay_alu instid0(VALU_DEP_1) | instskip(SKIP_1) | instid1(VALU_DEP_1)
	v_cmp_gt_i64_e32 vcc_lo, s[26:27], v[1:2]
	v_cndmask_b32_e32 v19, s26, v1, vcc_lo
	v_cmpx_lt_i32_e64 v0, v19
	s_cbranch_execz .LBB22_59
; %bb.10:
	s_mul_i32 s2, s34, s33
	s_add_i32 s3, s34, 1
	s_sub_i32 s2, s13, s2
	s_load_b64 s[28:29], s[0:1], 0x70
	s_sub_i32 s15, s2, s33
	s_cmp_ge_u32 s2, s33
	s_mul_i32 s36, s26, s25
	s_cselect_b32 s3, s3, s34
	s_cselect_b32 s2, s15, s2
	s_add_i32 s15, s3, 1
	s_cmp_ge_u32 s2, s33
	s_mul_hi_u32 s2, s26, s24
	s_cselect_b32 s37, s15, s3
	s_mul_i32 s3, s27, s24
	s_mul_i32 s15, s37, s33
	;; [unrolled: 1-line block ×3, first 2 shown]
	s_add_i32 s2, s2, s36
	s_sub_i32 s15, s13, s15
	s_mul_i32 s27, s26, s31
	s_mul_hi_u32 s33, s26, s30
	s_add_i32 s2, s2, s3
	s_ashr_i32 s13, s15, 31
	s_add_i32 s3, s33, s27
	s_mul_i32 s2, s2, s30
	s_mul_i32 s26, s26, s30
	s_add_i32 s2, s3, s2
	s_mul_i32 s3, s26, s13
	s_mul_hi_u32 s13, s26, s15
	s_mul_i32 s27, s2, s15
	s_add_i32 s13, s13, s3
	s_load_b128 s[0:3], s[0:1], 0x0
	s_add_i32 s27, s13, s27
	s_mul_i32 s26, s26, s15
	s_mul_i32 s33, s17, s16
	s_lshl_b64 s[26:27], s[26:27], 1
	v_mad_u64_u32 v[1:2], null, s14, v7, v[3:4]
	s_waitcnt lgkmcnt(0)
	s_add_u32 s13, s28, s26
	s_mul_i32 s26, s33, s15
	s_addc_u32 s15, s29, s27
	s_mul_i32 s27, s26, s25
	s_mul_hi_u32 s28, s26, s24
	s_ashr_i32 s29, s26, 31
	s_add_i32 s27, s28, s27
	s_mul_i32 s29, s29, s24
	s_mul_i32 s28, s26, s24
	s_add_i32 s29, s27, s29
	v_ashrrev_i32_e32 v4, 31, v1
	s_lshl_b64 s[26:27], s[28:29], 3
	v_ashrrev_i32_e32 v5, 31, v7
	s_add_u32 s26, s2, s26
	s_addc_u32 s27, s3, s27
	s_lshl_b64 s[2:3], s[28:29], 1
	v_mul_lo_u32 v9, s10, v9
	s_add_u32 s14, s0, s2
	s_addc_u32 s28, s1, s3
	s_abs_i32 s29, s20
	s_abs_i32 s33, s21
	v_cvt_f32_u32_e32 v2, s29
	v_cvt_f32_u32_e32 v3, s33
	s_sub_i32 s0, 0, s29
	s_sub_i32 s1, 0, s33
	v_mul_lo_u32 v9, v9, s35
	v_rcp_iflag_f32_e32 v8, v2
	v_rcp_iflag_f32_e32 v10, v3
	v_add_co_u32 v2, vcc_lo, v7, v1
	v_add_co_ci_u32_e32 v3, vcc_lo, v5, v4, vcc_lo
	s_add_i32 s18, s18, -1
	s_ashr_i32 s20, s20, 31
	s_mul_i32 s18, s18, s4
	s_delay_alu instid0(VALU_DEP_1)
	v_cmp_gt_i64_e32 vcc_lo, s[30:31], v[2:3]
	s_waitcnt_depctr 0xfff
	v_dual_mul_f32 v4, 0x4f7ffffe, v8 :: v_dual_mul_f32 v5, 0x4f7ffffe, v10
	s_not_b32 s31, s18
	s_mov_b32 s34, 0
                                        ; implicit-def: $vgpr26
                                        ; implicit-def: $vgpr27
                                        ; implicit-def: $vgpr28
                                        ; implicit-def: $vgpr29
	v_mov_b32_e32 v25, 0
	s_delay_alu instid0(VALU_DEP_2) | instskip(SKIP_3) | instid1(VALU_DEP_4)
	v_cvt_u32_f32_e32 v4, v4
	v_cvt_u32_f32_e32 v5, v5
	v_cndmask_b32_e32 v20, s30, v2, vcc_lo
	v_mad_u64_u32 v[2:3], null, s37, s35, v[6:7]
	v_mul_lo_u32 v7, s0, v4
	s_delay_alu instid0(VALU_DEP_4) | instskip(SKIP_4) | instid1(VALU_DEP_3)
	v_mul_lo_u32 v8, s1, v5
	s_add_i32 s37, s37, s9
	s_add_i32 s0, s19, -1
	s_mul_i32 s19, s35, s9
	s_mul_i32 s5, s0, s5
	v_ashrrev_i32_e32 v3, 31, v2
	v_mul_lo_u32 v23, s6, v2
	v_mul_hi_u32 v7, v4, v7
	v_mul_hi_u32 v8, v5, v8
	s_mul_i32 s9, s9, s6
	v_cmp_gt_i64_e64 s0, s[24:25], v[2:3]
	s_not_b32 s10, s5
	s_ashr_i32 s6, s21, 31
	s_mul_i32 s9, s9, s35
	s_lshl_b32 s21, s35, 2
	v_add_nc_u32_e32 v21, v4, v7
	v_lshlrev_b32_e32 v7, 2, v9
	v_add_nc_u32_e32 v22, v5, v8
	v_lshlrev_b32_e32 v8, 2, v6
	v_cmp_lt_i32_e32 vcc_lo, v1, v20
	s_delay_alu instid0(VALU_DEP_4) | instskip(NEXT) | instid1(VALU_DEP_3)
	v_mad_u64_u32 v[4:5], null, s37, s35, v[6:7]
	v_add3_u32 v24, v7, v8, 0
	s_branch .LBB22_13
.LBB22_11:                              ;   in Loop: Header=BB22_13 Depth=1
	s_or_b32 exec_lo, exec_lo, s36
.LBB22_12:                              ;   in Loop: Header=BB22_13 Depth=1
	s_delay_alu instid0(SALU_CYCLE_1) | instskip(SKIP_1) | instid1(VALU_DEP_1)
	s_or_b32 exec_lo, exec_lo, s35
	v_add_nc_u32_e32 v0, s12, v0
	v_cmp_ge_i32_e64 s1, v0, v19
	s_delay_alu instid0(VALU_DEP_1) | instskip(NEXT) | instid1(SALU_CYCLE_1)
	s_or_b32 s34, s1, s34
	s_and_not1_b32 exec_lo, exec_lo, s34
	s_cbranch_execz .LBB22_59
.LBB22_13:                              ; =>This Loop Header: Depth=1
                                        ;     Child Loop BB22_19 Depth 2
                                        ;       Child Loop BB22_28 Depth 3
                                        ;         Child Loop BB22_31 Depth 4
                                        ;           Child Loop BB22_34 Depth 5
                                        ;       Child Loop BB22_40 Depth 3
                                        ;       Child Loop BB22_51 Depth 3
                                        ;       Child Loop BB22_57 Depth 3
	v_dual_mov_b32 v30, 0 :: v_dual_add_nc_u32 v5, s22, v0
	s_mov_b32 s2, exec_lo
	s_delay_alu instid0(VALU_DEP_1)
	v_cmpx_lt_i32_e64 s18, v5
	s_cbranch_execz .LBB22_15
; %bb.14:                               ;   in Loop: Header=BB22_13 Depth=1
	v_add_nc_u32_e32 v6, s31, v5
	s_delay_alu instid0(VALU_DEP_1) | instskip(NEXT) | instid1(VALU_DEP_1)
	v_sub_nc_u32_e32 v7, 0, v6
	v_max_i32_e32 v7, v6, v7
	v_ashrrev_i32_e32 v6, 31, v6
	s_delay_alu instid0(VALU_DEP_2) | instskip(NEXT) | instid1(VALU_DEP_2)
	v_mul_hi_u32 v8, v7, v21
	v_xor_b32_e32 v6, s20, v6
	s_delay_alu instid0(VALU_DEP_2) | instskip(NEXT) | instid1(VALU_DEP_1)
	v_mul_lo_u32 v9, v8, s29
	v_sub_nc_u32_e32 v7, v7, v9
	v_add_nc_u32_e32 v9, 1, v8
	s_delay_alu instid0(VALU_DEP_2) | instskip(SKIP_1) | instid1(VALU_DEP_1)
	v_subrev_nc_u32_e32 v10, s29, v7
	v_cmp_le_u32_e64 s1, s29, v7
	v_cndmask_b32_e64 v8, v8, v9, s1
	s_delay_alu instid0(VALU_DEP_3) | instskip(NEXT) | instid1(VALU_DEP_2)
	v_cndmask_b32_e64 v7, v7, v10, s1
	v_add_nc_u32_e32 v9, 1, v8
	s_delay_alu instid0(VALU_DEP_2) | instskip(NEXT) | instid1(VALU_DEP_1)
	v_cmp_le_u32_e64 s1, s29, v7
	v_cndmask_b32_e64 v7, v8, v9, s1
	s_delay_alu instid0(VALU_DEP_1) | instskip(NEXT) | instid1(VALU_DEP_1)
	v_xor_b32_e32 v7, v7, v6
	v_sub_nc_u32_e32 v6, v7, v6
	s_delay_alu instid0(VALU_DEP_1)
	v_add_nc_u32_e32 v30, 1, v6
.LBB22_15:                              ;   in Loop: Header=BB22_13 Depth=1
	s_or_b32 exec_lo, exec_lo, s2
	s_and_saveexec_b32 s35, vcc_lo
	s_cbranch_execz .LBB22_12
; %bb.16:                               ;   in Loop: Header=BB22_13 Depth=1
	v_sub_nc_u32_e32 v6, 0, v5
	v_add_nc_u32_e32 v10, 1, v30
	v_mul_lo_u32 v32, v0, s30
	s_mov_b32 s36, 0
	v_mov_b32_e32 v36, v1
	v_max_i32_e32 v6, v5, v6
	v_ashrrev_i32_e32 v5, 31, v5
	v_mul_lo_u32 v33, s7, v10
	s_delay_alu instid0(VALU_DEP_3) | instskip(NEXT) | instid1(VALU_DEP_1)
	v_mul_hi_u32 v7, v6, v21
	v_mul_lo_u32 v8, v7, s29
	s_delay_alu instid0(VALU_DEP_1) | instskip(SKIP_1) | instid1(VALU_DEP_2)
	v_sub_nc_u32_e32 v6, v6, v8
	v_add_nc_u32_e32 v8, 1, v7
	v_subrev_nc_u32_e32 v9, s29, v6
	v_cmp_le_u32_e64 s1, s29, v6
	s_delay_alu instid0(VALU_DEP_1) | instskip(NEXT) | instid1(VALU_DEP_3)
	v_cndmask_b32_e64 v7, v7, v8, s1
	v_cndmask_b32_e64 v6, v6, v9, s1
	v_xor_b32_e32 v9, s20, v5
	s_delay_alu instid0(VALU_DEP_3) | instskip(NEXT) | instid1(VALU_DEP_3)
	v_add_nc_u32_e32 v8, 1, v7
	v_cmp_le_u32_e64 s1, s29, v6
	s_delay_alu instid0(VALU_DEP_1) | instskip(NEXT) | instid1(VALU_DEP_1)
	v_cndmask_b32_e64 v5, v7, v8, s1
	v_xor_b32_e32 v6, v5, v9
	v_mul_lo_u32 v5, v30, s7
	s_delay_alu instid0(VALU_DEP_2) | instskip(NEXT) | instid1(VALU_DEP_2)
	v_sub_nc_u32_e32 v6, v6, v9
	v_add_nc_u32_e32 v8, s7, v5
	s_delay_alu instid0(VALU_DEP_2) | instskip(SKIP_1) | instid1(VALU_DEP_3)
	v_add_nc_u32_e32 v7, 1, v6
	v_ashrrev_i32_e32 v6, 31, v5
	v_ashrrev_i32_e32 v9, 31, v8
	s_delay_alu instid0(VALU_DEP_3) | instskip(NEXT) | instid1(VALU_DEP_3)
	v_min_i32_e32 v31, s16, v7
	v_lshlrev_b64 v[6:7], 3, v[5:6]
	s_delay_alu instid0(VALU_DEP_3) | instskip(NEXT) | instid1(VALU_DEP_3)
	v_lshlrev_b64 v[8:9], 3, v[8:9]
	v_sub_nc_u32_e32 v11, v31, v30
	v_cmp_eq_u32_e64 s3, v10, v31
	s_delay_alu instid0(VALU_DEP_4) | instskip(NEXT) | instid1(VALU_DEP_1)
	v_add_co_u32 v34, s1, s26, v6
	v_add_co_ci_u32_e64 v35, s1, s27, v7, s1
	s_delay_alu instid0(VALU_DEP_4) | instskip(SKIP_3) | instid1(VALU_DEP_3)
	v_cmp_gt_i32_e64 s4, 3, v11
	v_cmp_gt_i32_e64 s1, v31, v30
	v_cmp_lt_i32_e64 s2, v10, v31
	s_xor_b32 s37, s3, -1
	s_xor_b32 s38, s4, -1
	s_branch .LBB22_19
.LBB22_17:                              ;   in Loop: Header=BB22_19 Depth=2
	s_set_inst_prefetch_distance 0x2
	s_or_b32 exec_lo, exec_lo, s39
.LBB22_18:                              ;   in Loop: Header=BB22_19 Depth=2
	s_delay_alu instid0(SALU_CYCLE_1) | instskip(SKIP_1) | instid1(VALU_DEP_1)
	s_or_b32 exec_lo, exec_lo, s4
	v_add_nc_u32_e32 v36, s11, v36
	v_cmp_ge_i32_e64 s3, v36, v20
	s_delay_alu instid0(VALU_DEP_1) | instskip(NEXT) | instid1(SALU_CYCLE_1)
	s_or_b32 s36, s3, s36
	s_and_not1_b32 exec_lo, exec_lo, s36
	s_cbranch_execz .LBB22_11
.LBB22_19:                              ;   Parent Loop BB22_13 Depth=1
                                        ; =>  This Loop Header: Depth=2
                                        ;       Child Loop BB22_28 Depth 3
                                        ;         Child Loop BB22_31 Depth 4
                                        ;           Child Loop BB22_34 Depth 5
                                        ;       Child Loop BB22_40 Depth 3
                                        ;       Child Loop BB22_51 Depth 3
	;; [unrolled: 1-line block ×3, first 2 shown]
	v_dual_mov_b32 v17, 0 :: v_dual_add_nc_u32 v10, s23, v36
	s_mov_b32 s4, exec_lo
	s_delay_alu instid0(VALU_DEP_1)
	v_cmpx_lt_i32_e64 s5, v10
	s_cbranch_execz .LBB22_21
; %bb.20:                               ;   in Loop: Header=BB22_19 Depth=2
	v_add_nc_u32_e32 v11, s10, v10
	s_delay_alu instid0(VALU_DEP_1) | instskip(NEXT) | instid1(VALU_DEP_1)
	v_sub_nc_u32_e32 v12, 0, v11
	v_max_i32_e32 v12, v11, v12
	v_ashrrev_i32_e32 v11, 31, v11
	s_delay_alu instid0(VALU_DEP_2) | instskip(NEXT) | instid1(VALU_DEP_2)
	v_mul_hi_u32 v13, v12, v22
	v_xor_b32_e32 v11, s6, v11
	s_delay_alu instid0(VALU_DEP_2) | instskip(NEXT) | instid1(VALU_DEP_1)
	v_mul_lo_u32 v14, v13, s33
	v_sub_nc_u32_e32 v12, v12, v14
	v_add_nc_u32_e32 v14, 1, v13
	s_delay_alu instid0(VALU_DEP_2) | instskip(SKIP_1) | instid1(VALU_DEP_1)
	v_subrev_nc_u32_e32 v15, s33, v12
	v_cmp_le_u32_e64 s3, s33, v12
	v_cndmask_b32_e64 v13, v13, v14, s3
	s_delay_alu instid0(VALU_DEP_3) | instskip(NEXT) | instid1(VALU_DEP_2)
	v_cndmask_b32_e64 v12, v12, v15, s3
	v_add_nc_u32_e32 v14, 1, v13
	s_delay_alu instid0(VALU_DEP_2) | instskip(NEXT) | instid1(VALU_DEP_1)
	v_cmp_le_u32_e64 s3, s33, v12
	v_cndmask_b32_e64 v12, v13, v14, s3
	s_delay_alu instid0(VALU_DEP_1) | instskip(NEXT) | instid1(VALU_DEP_1)
	v_xor_b32_e32 v12, v12, v11
	v_sub_nc_u32_e32 v11, v12, v11
	s_delay_alu instid0(VALU_DEP_1)
	v_add_nc_u32_e32 v17, 1, v11
.LBB22_21:                              ;   in Loop: Header=BB22_19 Depth=2
	s_or_b32 exec_lo, exec_lo, s4
	v_sub_nc_u32_e32 v11, 0, v10
	s_delay_alu instid0(VALU_DEP_1) | instskip(SKIP_1) | instid1(VALU_DEP_2)
	v_max_i32_e32 v11, v10, v11
	v_ashrrev_i32_e32 v10, 31, v10
	v_mul_hi_u32 v12, v11, v22
	s_delay_alu instid0(VALU_DEP_2) | instskip(NEXT) | instid1(VALU_DEP_2)
	v_xor_b32_e32 v10, s6, v10
	v_mul_lo_u32 v13, v12, s33
	s_delay_alu instid0(VALU_DEP_1) | instskip(SKIP_1) | instid1(VALU_DEP_2)
	v_sub_nc_u32_e32 v11, v11, v13
	v_add_nc_u32_e32 v13, 1, v12
	v_subrev_nc_u32_e32 v14, s33, v11
	v_cmp_le_u32_e64 s3, s33, v11
	s_delay_alu instid0(VALU_DEP_1) | instskip(NEXT) | instid1(VALU_DEP_3)
	v_cndmask_b32_e64 v12, v12, v13, s3
	v_cndmask_b32_e64 v11, v11, v14, s3
	s_delay_alu instid0(VALU_DEP_2) | instskip(NEXT) | instid1(VALU_DEP_2)
	v_add_nc_u32_e32 v13, 1, v12
	v_cmp_le_u32_e64 s3, s33, v11
	s_delay_alu instid0(VALU_DEP_1) | instskip(NEXT) | instid1(VALU_DEP_1)
	v_cndmask_b32_e64 v11, v12, v13, s3
	v_xor_b32_e32 v11, v11, v10
	s_delay_alu instid0(VALU_DEP_1) | instskip(SKIP_1) | instid1(VALU_DEP_2)
	v_sub_nc_u32_e32 v10, v11, v10
	v_add_nc_u32_e32 v11, 1, v17
	v_add_nc_u32_e32 v10, 1, v10
	s_delay_alu instid0(VALU_DEP_1) | instskip(SKIP_1) | instid1(VALU_DEP_2)
	v_min_i32_e32 v18, s17, v10
	v_add_nc_u32_e32 v10, v36, v32
	v_cmp_ne_u32_e64 s3, v11, v18
	s_delay_alu instid0(VALU_DEP_1) | instskip(NEXT) | instid1(SALU_CYCLE_1)
	s_or_b32 s3, s37, s3
	s_and_saveexec_b32 s4, s3
	s_delay_alu instid0(SALU_CYCLE_1)
	s_xor_b32 s39, exec_lo, s4
	s_cbranch_execz .LBB22_53
; %bb.22:                               ;   in Loop: Header=BB22_19 Depth=2
	v_sub_nc_u32_e32 v12, v18, v17
	s_delay_alu instid0(VALU_DEP_1) | instskip(NEXT) | instid1(VALU_DEP_1)
	v_cmp_lt_i32_e64 s3, 2, v12
	s_or_b32 s3, s38, s3
	s_delay_alu instid0(SALU_CYCLE_1) | instskip(NEXT) | instid1(SALU_CYCLE_1)
	s_and_saveexec_b32 s4, s3
	s_xor_b32 s40, exec_lo, s4
	s_cbranch_execnz .LBB22_25
; %bb.23:                               ;   in Loop: Header=BB22_19 Depth=2
	s_and_not1_saveexec_b32 s40, s40
	s_cbranch_execnz .LBB22_37
.LBB22_24:                              ;   in Loop: Header=BB22_19 Depth=2
	s_or_b32 exec_lo, exec_lo, s40
	s_and_saveexec_b32 s40, s0
	s_cbranch_execnz .LBB22_50
	s_branch .LBB22_52
.LBB22_25:                              ;   in Loop: Header=BB22_19 Depth=2
	s_and_saveexec_b32 s41, s1
	s_cbranch_execz .LBB22_36
; %bb.26:                               ;   in Loop: Header=BB22_19 Depth=2
	v_mad_u64_u32 v[12:13], null, s8, v17, v[5:6]
	v_cmp_gt_i32_e64 s3, v18, v17
	v_ashrrev_i32_e32 v11, 31, v10
	v_mov_b32_e32 v37, v30
	s_mov_b32 s42, 0
	s_branch .LBB22_28
.LBB22_27:                              ;   in Loop: Header=BB22_28 Depth=3
	s_or_b32 exec_lo, exec_lo, s43
	v_add_nc_u32_e32 v37, 1, v37
	v_add_nc_u32_e32 v12, s7, v12
	s_delay_alu instid0(VALU_DEP_2) | instskip(NEXT) | instid1(VALU_DEP_1)
	v_cmp_ge_i32_e64 s4, v37, v31
	s_or_b32 s42, s4, s42
	s_delay_alu instid0(SALU_CYCLE_1)
	s_and_not1_b32 exec_lo, exec_lo, s42
	s_cbranch_execz .LBB22_36
.LBB22_28:                              ;   Parent Loop BB22_13 Depth=1
                                        ;     Parent Loop BB22_19 Depth=2
                                        ; =>    This Loop Header: Depth=3
                                        ;         Child Loop BB22_31 Depth 4
                                        ;           Child Loop BB22_34 Depth 5
	s_and_saveexec_b32 s43, s3
	s_cbranch_execz .LBB22_27
; %bb.29:                               ;   in Loop: Header=BB22_28 Depth=3
	v_mul_lo_u32 v13, v37, s7
	v_dual_mov_b32 v38, v12 :: v_dual_mov_b32 v41, v17
	s_mov_b32 s44, 0
	s_delay_alu instid0(VALU_DEP_2) | instskip(NEXT) | instid1(VALU_DEP_1)
	v_ashrrev_i32_e32 v14, 31, v13
	v_lshlrev_b64 v[13:14], 3, v[13:14]
	s_delay_alu instid0(VALU_DEP_1) | instskip(NEXT) | instid1(VALU_DEP_1)
	v_add_co_u32 v39, s4, s26, v13
	v_add_co_ci_u32_e64 v40, s4, s27, v14, s4
	s_branch .LBB22_31
.LBB22_30:                              ;   in Loop: Header=BB22_31 Depth=4
	s_set_inst_prefetch_distance 0x2
	s_or_b32 exec_lo, exec_lo, s45
	v_add_nc_u32_e32 v41, 1, v41
	v_add_nc_u32_e32 v38, s8, v38
	s_delay_alu instid0(VALU_DEP_2) | instskip(NEXT) | instid1(VALU_DEP_1)
	v_cmp_ge_i32_e64 s4, v41, v18
	s_or_b32 s44, s4, s44
	s_delay_alu instid0(SALU_CYCLE_1)
	s_and_not1_b32 exec_lo, exec_lo, s44
	s_cbranch_execz .LBB22_27
.LBB22_31:                              ;   Parent Loop BB22_13 Depth=1
                                        ;     Parent Loop BB22_19 Depth=2
                                        ;       Parent Loop BB22_28 Depth=3
                                        ; =>      This Loop Header: Depth=4
                                        ;           Child Loop BB22_34 Depth 5
	s_and_saveexec_b32 s45, s0
	s_cbranch_execz .LBB22_30
; %bb.32:                               ;   in Loop: Header=BB22_31 Depth=4
	v_mul_lo_u32 v13, v41, s8
	v_mov_b32_e32 v42, v24
	s_mov_b32 s46, 0
	s_delay_alu instid0(VALU_DEP_2) | instskip(NEXT) | instid1(VALU_DEP_1)
	v_ashrrev_i32_e32 v14, 31, v13
	v_lshlrev_b64 v[14:15], 3, v[13:14]
	v_mov_b32_e32 v13, v4
	s_delay_alu instid0(VALU_DEP_2) | instskip(NEXT) | instid1(VALU_DEP_1)
	v_add_co_u32 v43, s4, v39, v14
	v_add_co_ci_u32_e64 v44, s4, v40, v15, s4
	v_mov_b32_e32 v15, v23
	s_set_inst_prefetch_distance 0x1
	s_branch .LBB22_34
	.p2align	6
.LBB22_33:                              ;   in Loop: Header=BB22_34 Depth=5
	s_or_b32 exec_lo, exec_lo, s47
	v_ashrrev_i32_e32 v14, 31, v13
	v_add_nc_u32_e32 v15, s9, v15
	v_add_nc_u32_e32 v42, s21, v42
	s_delay_alu instid0(VALU_DEP_3) | instskip(SKIP_1) | instid1(VALU_DEP_2)
	v_cmp_le_i64_e64 s4, s[24:25], v[13:14]
	v_add_nc_u32_e32 v13, s19, v13
	s_or_b32 s46, s4, s46
	s_delay_alu instid0(SALU_CYCLE_1)
	s_and_not1_b32 exec_lo, exec_lo, s46
	s_cbranch_execz .LBB22_30
.LBB22_34:                              ;   Parent Loop BB22_13 Depth=1
                                        ;     Parent Loop BB22_19 Depth=2
                                        ;       Parent Loop BB22_28 Depth=3
                                        ;         Parent Loop BB22_31 Depth=4
                                        ; =>        This Inner Loop Header: Depth=5
	s_delay_alu instid0(VALU_DEP_1) | instskip(SKIP_1) | instid1(VALU_DEP_1)
	v_ashrrev_i32_e32 v16, 31, v15
	s_mov_b32 s47, exec_lo
	v_lshlrev_b64 v[45:46], 3, v[15:16]
	s_delay_alu instid0(VALU_DEP_1) | instskip(NEXT) | instid1(VALU_DEP_1)
	v_add_co_u32 v45, s4, v43, v45
	v_add_co_ci_u32_e64 v46, s4, v44, v46, s4
	global_load_b64 v[45:46], v[45:46], off
	s_waitcnt vmcnt(0)
	v_cmpx_eq_u64_e64 v[45:46], v[10:11]
	s_cbranch_execz .LBB22_33
; %bb.35:                               ;   in Loop: Header=BB22_34 Depth=5
	ds_load_b32 v16, v42
	v_add_nc_u32_e32 v45, v38, v15
	s_delay_alu instid0(VALU_DEP_1) | instskip(NEXT) | instid1(VALU_DEP_1)
	v_ashrrev_i32_e32 v46, 31, v45
	v_lshlrev_b64 v[45:46], 1, v[45:46]
	s_delay_alu instid0(VALU_DEP_1) | instskip(NEXT) | instid1(VALU_DEP_1)
	v_add_co_u32 v45, s4, s14, v45
	v_add_co_ci_u32_e64 v46, s4, s28, v46, s4
	global_load_u16 v14, v[45:46], off
	s_waitcnt vmcnt(0)
	v_cvt_f32_f16_e32 v14, v14
	s_waitcnt lgkmcnt(0)
	s_delay_alu instid0(VALU_DEP_1)
	v_add_f32_e32 v14, v16, v14
	ds_store_b32 v42, v14
	s_branch .LBB22_33
.LBB22_36:                              ;   in Loop: Header=BB22_19 Depth=2
	s_or_b32 exec_lo, exec_lo, s41
                                        ; implicit-def: $vgpr18
                                        ; implicit-def: $vgpr17
                                        ; implicit-def: $vgpr11
	s_and_not1_saveexec_b32 s40, s40
	s_cbranch_execz .LBB22_24
.LBB22_37:                              ;   in Loop: Header=BB22_19 Depth=2
	s_and_saveexec_b32 s41, s0
	s_cbranch_execz .LBB22_49
; %bb.38:                               ;   in Loop: Header=BB22_19 Depth=2
	v_mul_lo_u32 v12, v17, s8
	v_cmp_gt_i32_e64 s3, v18, v17
	v_cmp_lt_i32_e64 s4, v11, v18
	v_mov_b32_e32 v38, v24
	v_not_b32_e32 v37, v10
	v_mov_b32_e32 v17, v23
	s_and_b32 s42, s1, s3
	s_and_b32 s43, s1, s4
	v_add_nc_u32_e32 v39, v33, v12
	v_add_nc_u32_e32 v14, s8, v12
	v_ashrrev_i32_e32 v13, 31, v12
	v_add_nc_u32_e32 v40, v5, v12
	s_and_b32 s44, s2, s3
	s_and_b32 s45, s2, s4
	v_ashrrev_i32_e32 v15, 31, v14
	v_add_nc_u32_e32 v41, v33, v14
	v_add_nc_u32_e32 v42, v5, v14
	v_lshlrev_b64 v[11:12], 3, v[12:13]
	s_mov_b32 s4, 0
	v_lshlrev_b64 v[13:14], 3, v[14:15]
	v_mov_b32_e32 v15, v4
	s_branch .LBB22_40
.LBB22_39:                              ;   in Loop: Header=BB22_40 Depth=3
	s_or_b32 exec_lo, exec_lo, s46
	s_waitcnt vmcnt(0)
	v_cvt_f32_f16_e32 v44, v29
	v_cmp_eq_u32_e64 s3, v16, v10
	v_cvt_f32_f16_e32 v45, v28
	s_delay_alu instid0(VALU_DEP_3) | instskip(NEXT) | instid1(VALU_DEP_1)
	v_dual_add_f32 v44, 0, v44 :: v_dual_add_nc_u32 v17, s9, v17
	v_cndmask_b32_e64 v16, 0, v44, s3
	v_cmp_eq_u32_e64 s3, v18, v10
	ds_load_b32 v18, v38
	v_add_f32_e32 v44, v16, v45
	v_cvt_f32_f16_e32 v45, v27
	s_delay_alu instid0(VALU_DEP_2) | instskip(SKIP_1) | instid1(VALU_DEP_2)
	v_cndmask_b32_e64 v16, v16, v44, s3
	v_cmp_eq_u32_e64 s3, v43, v10
	v_add_f32_e32 v44, v16, v45
	v_cvt_f32_f16_e32 v45, v26
	s_delay_alu instid0(VALU_DEP_2) | instskip(SKIP_1) | instid1(VALU_DEP_2)
	v_cndmask_b32_e64 v16, v16, v44, s3
	v_cmp_eq_u32_e64 s3, v46, v10
	v_add_f32_e32 v43, v16, v45
	s_delay_alu instid0(VALU_DEP_1) | instskip(SKIP_2) | instid1(VALU_DEP_2)
	v_cndmask_b32_e64 v43, v16, v43, s3
	v_ashrrev_i32_e32 v16, 31, v15
	s_waitcnt lgkmcnt(0)
	v_add_f32_e32 v18, v43, v18
	s_delay_alu instid0(VALU_DEP_2) | instskip(SKIP_4) | instid1(SALU_CYCLE_1)
	v_cmp_le_i64_e64 s3, s[24:25], v[15:16]
	v_add_nc_u32_e32 v15, s19, v15
	ds_store_b32 v38, v18
	v_add_nc_u32_e32 v38, s21, v38
	s_or_b32 s4, s3, s4
	s_and_not1_b32 exec_lo, exec_lo, s4
	s_cbranch_execz .LBB22_48
.LBB22_40:                              ;   Parent Loop BB22_13 Depth=1
                                        ;     Parent Loop BB22_19 Depth=2
                                        ; =>    This Inner Loop Header: Depth=3
	v_ashrrev_i32_e32 v18, 31, v17
	v_mov_b32_e32 v16, v37
	s_delay_alu instid0(VALU_DEP_2) | instskip(NEXT) | instid1(VALU_DEP_1)
	v_lshlrev_b64 v[43:44], 3, v[17:18]
	v_add_co_u32 v43, s3, s26, v43
	s_delay_alu instid0(VALU_DEP_1) | instskip(NEXT) | instid1(VALU_DEP_2)
	v_add_co_ci_u32_e64 v44, s3, s27, v44, s3
	v_add_co_u32 v45, s3, v43, v6
	s_delay_alu instid0(VALU_DEP_1)
	v_add_co_ci_u32_e64 v46, s3, v44, v7, s3
	s_and_saveexec_b32 s46, s42
	s_cbranch_execz .LBB22_42
; %bb.41:                               ;   in Loop: Header=BB22_40 Depth=3
	v_add_nc_u32_e32 v47, v40, v17
	v_add_co_u32 v49, s3, v45, v11
	s_delay_alu instid0(VALU_DEP_1) | instskip(NEXT) | instid1(VALU_DEP_3)
	v_add_co_ci_u32_e64 v50, s3, v46, v12, s3
	v_ashrrev_i32_e32 v48, 31, v47
	s_delay_alu instid0(VALU_DEP_1) | instskip(NEXT) | instid1(VALU_DEP_1)
	v_lshlrev_b64 v[47:48], 1, v[47:48]
	v_add_co_u32 v47, s3, s14, v47
	s_delay_alu instid0(VALU_DEP_1)
	v_add_co_ci_u32_e64 v48, s3, s28, v48, s3
	global_load_b32 v16, v[49:50], off
	global_load_u16 v29, v[47:48], off
.LBB22_42:                              ;   in Loop: Header=BB22_40 Depth=3
	s_or_b32 exec_lo, exec_lo, s46
	v_mov_b32_e32 v18, v37
	s_and_saveexec_b32 s46, s43
	s_cbranch_execz .LBB22_44
; %bb.43:                               ;   in Loop: Header=BB22_40 Depth=3
	v_add_nc_u32_e32 v47, v42, v17
	v_add_co_u32 v45, s3, v45, v13
	s_delay_alu instid0(VALU_DEP_1) | instskip(NEXT) | instid1(VALU_DEP_3)
	v_add_co_ci_u32_e64 v46, s3, v46, v14, s3
	v_ashrrev_i32_e32 v48, 31, v47
	s_delay_alu instid0(VALU_DEP_1) | instskip(NEXT) | instid1(VALU_DEP_1)
	v_lshlrev_b64 v[47:48], 1, v[47:48]
	v_add_co_u32 v47, s3, s14, v47
	s_delay_alu instid0(VALU_DEP_1)
	v_add_co_ci_u32_e64 v48, s3, s28, v48, s3
	global_load_b32 v18, v[45:46], off
	global_load_u16 v28, v[47:48], off
.LBB22_44:                              ;   in Loop: Header=BB22_40 Depth=3
	s_or_b32 exec_lo, exec_lo, s46
	v_add_co_u32 v45, s3, v43, v8
	s_delay_alu instid0(VALU_DEP_1)
	v_add_co_ci_u32_e64 v44, s3, v44, v9, s3
	v_mov_b32_e32 v43, v37
	s_and_saveexec_b32 s46, s44
	s_cbranch_execz .LBB22_46
; %bb.45:                               ;   in Loop: Header=BB22_40 Depth=3
	v_add_nc_u32_e32 v46, v39, v17
	v_add_co_u32 v48, s3, v45, v11
	s_delay_alu instid0(VALU_DEP_1) | instskip(NEXT) | instid1(VALU_DEP_3)
	v_add_co_ci_u32_e64 v49, s3, v44, v12, s3
	v_ashrrev_i32_e32 v47, 31, v46
	s_delay_alu instid0(VALU_DEP_1) | instskip(NEXT) | instid1(VALU_DEP_1)
	v_lshlrev_b64 v[46:47], 1, v[46:47]
	v_add_co_u32 v46, s3, s14, v46
	s_delay_alu instid0(VALU_DEP_1)
	v_add_co_ci_u32_e64 v47, s3, s28, v47, s3
	global_load_b32 v43, v[48:49], off
	global_load_u16 v27, v[46:47], off
.LBB22_46:                              ;   in Loop: Header=BB22_40 Depth=3
	s_or_b32 exec_lo, exec_lo, s46
	v_mov_b32_e32 v46, v37
	s_and_saveexec_b32 s46, s45
	s_cbranch_execz .LBB22_39
; %bb.47:                               ;   in Loop: Header=BB22_40 Depth=3
	v_add_nc_u32_e32 v46, v41, v17
	v_add_co_u32 v48, s3, v45, v13
	s_delay_alu instid0(VALU_DEP_1) | instskip(NEXT) | instid1(VALU_DEP_3)
	v_add_co_ci_u32_e64 v49, s3, v44, v14, s3
	v_ashrrev_i32_e32 v47, 31, v46
	s_delay_alu instid0(VALU_DEP_1) | instskip(NEXT) | instid1(VALU_DEP_1)
	v_lshlrev_b64 v[46:47], 1, v[46:47]
	v_add_co_u32 v44, s3, s14, v46
	s_delay_alu instid0(VALU_DEP_1)
	v_add_co_ci_u32_e64 v45, s3, s28, v47, s3
	global_load_b32 v46, v[48:49], off
	global_load_u16 v26, v[44:45], off
	s_branch .LBB22_39
.LBB22_48:                              ;   in Loop: Header=BB22_19 Depth=2
	s_or_b32 exec_lo, exec_lo, s4
.LBB22_49:                              ;   in Loop: Header=BB22_19 Depth=2
	s_delay_alu instid0(SALU_CYCLE_1) | instskip(NEXT) | instid1(SALU_CYCLE_1)
	s_or_b32 exec_lo, exec_lo, s41
	s_or_b32 exec_lo, exec_lo, s40
	s_and_saveexec_b32 s40, s0
	s_cbranch_execz .LBB22_52
.LBB22_50:                              ;   in Loop: Header=BB22_19 Depth=2
	v_ashrrev_i32_e32 v13, 31, v10
	v_mul_lo_u32 v14, v10, s25
	v_mad_u64_u32 v[11:12], null, v10, s24, 0
	s_mov_b32 s41, 0
	s_delay_alu instid0(VALU_DEP_3) | instskip(NEXT) | instid1(VALU_DEP_1)
	v_mul_lo_u32 v10, v13, s24
	v_add3_u32 v12, v12, v14, v10
	v_mov_b32_e32 v14, v24
	v_mov_b32_e32 v10, v4
	s_delay_alu instid0(VALU_DEP_3) | instskip(NEXT) | instid1(VALU_DEP_1)
	v_lshlrev_b64 v[11:12], 1, v[11:12]
	v_add_co_u32 v15, s3, s13, v11
	s_delay_alu instid0(VALU_DEP_1)
	v_add_co_ci_u32_e64 v16, s3, s15, v12, s3
	v_dual_mov_b32 v13, v3 :: v_dual_mov_b32 v12, v2
	.p2align	6
.LBB22_51:                              ;   Parent Loop BB22_13 Depth=1
                                        ;     Parent Loop BB22_19 Depth=2
                                        ; =>    This Inner Loop Header: Depth=3
	ds_load_b32 v37, v14
	v_ashrrev_i32_e32 v11, 31, v10
	v_lshlrev_b64 v[17:18], 1, v[12:13]
	ds_store_b32 v14, v25
	v_dual_mov_b32 v13, v11 :: v_dual_add_nc_u32 v14, s21, v14
	v_cmp_le_i64_e64 s3, s[24:25], v[10:11]
	v_add_co_u32 v17, s4, v15, v17
	v_mov_b32_e32 v12, v10
	v_add_co_ci_u32_e64 v18, s4, v16, v18, s4
	v_add_nc_u32_e32 v10, s19, v10
	s_or_b32 s41, s3, s41
	s_waitcnt lgkmcnt(1)
	v_cvt_f16_f32_e32 v11, v37
	global_store_b16 v[17:18], v11, off
	s_and_not1_b32 exec_lo, exec_lo, s41
	s_cbranch_execnz .LBB22_51
.LBB22_52:                              ;   in Loop: Header=BB22_19 Depth=2
	s_or_b32 exec_lo, exec_lo, s40
                                        ; implicit-def: $vgpr17
                                        ; implicit-def: $vgpr10
.LBB22_53:                              ;   in Loop: Header=BB22_19 Depth=2
	s_and_not1_saveexec_b32 s4, s39
	s_cbranch_execz .LBB22_18
; %bb.54:                               ;   in Loop: Header=BB22_19 Depth=2
	s_and_saveexec_b32 s39, s0
	s_cbranch_execz .LBB22_17
; %bb.55:                               ;   in Loop: Header=BB22_19 Depth=2
	v_ashrrev_i32_e32 v11, 31, v10
	v_mul_lo_u32 v13, v17, s8
	v_mul_lo_u32 v12, v10, s25
	v_mad_u64_u32 v[15:16], null, v10, s24, 0
	s_delay_alu instid0(VALU_DEP_4) | instskip(SKIP_1) | instid1(VALU_DEP_4)
	v_mul_lo_u32 v17, v11, s24
	s_mov_b32 s40, 0
	v_ashrrev_i32_e32 v14, 31, v13
	v_add_nc_u32_e32 v18, v13, v5
	s_delay_alu instid0(VALU_DEP_3) | instskip(NEXT) | instid1(VALU_DEP_3)
	v_add3_u32 v16, v16, v12, v17
	v_lshlrev_b64 v[37:38], 3, v[13:14]
	v_mov_b32_e32 v12, v4
	v_mov_b32_e32 v14, v23
	s_delay_alu instid0(VALU_DEP_4) | instskip(NEXT) | instid1(VALU_DEP_4)
	v_lshlrev_b64 v[15:16], 1, v[15:16]
	v_add_co_u32 v37, s3, v34, v37
	s_delay_alu instid0(VALU_DEP_1) | instskip(NEXT) | instid1(VALU_DEP_3)
	v_add_co_ci_u32_e64 v38, s3, v35, v38, s3
	v_add_co_u32 v39, s3, s13, v15
	s_delay_alu instid0(VALU_DEP_1)
	v_add_co_ci_u32_e64 v40, s3, s15, v16, s3
	v_dual_mov_b32 v17, v3 :: v_dual_mov_b32 v16, v2
	s_set_inst_prefetch_distance 0x1
	s_branch .LBB22_57
	.p2align	6
.LBB22_56:                              ;   in Loop: Header=BB22_57 Depth=3
	s_or_b32 exec_lo, exec_lo, s41
	v_ashrrev_i32_e32 v13, 31, v12
	v_add_nc_u32_e32 v14, s9, v14
	s_delay_alu instid0(VALU_DEP_2) | instskip(SKIP_2) | instid1(VALU_DEP_3)
	v_cmp_le_i64_e64 s3, s[24:25], v[12:13]
	v_dual_mov_b32 v17, v13 :: v_dual_mov_b32 v16, v12
	v_add_nc_u32_e32 v12, s19, v12
	s_or_b32 s40, s3, s40
	s_delay_alu instid0(SALU_CYCLE_1)
	s_and_not1_b32 exec_lo, exec_lo, s40
	s_cbranch_execz .LBB22_17
.LBB22_57:                              ;   Parent Loop BB22_13 Depth=1
                                        ;     Parent Loop BB22_19 Depth=2
                                        ; =>    This Inner Loop Header: Depth=3
	v_ashrrev_i32_e32 v15, 31, v14
	s_mov_b32 s41, exec_lo
	s_delay_alu instid0(VALU_DEP_1) | instskip(NEXT) | instid1(VALU_DEP_1)
	v_lshlrev_b64 v[41:42], 3, v[14:15]
	v_add_co_u32 v41, s3, v37, v41
	s_delay_alu instid0(VALU_DEP_1)
	v_add_co_ci_u32_e64 v42, s3, v38, v42, s3
	global_load_b64 v[41:42], v[41:42], off
	s_waitcnt vmcnt(0)
	v_cmpx_eq_u64_e64 v[41:42], v[10:11]
	s_cbranch_execz .LBB22_56
; %bb.58:                               ;   in Loop: Header=BB22_57 Depth=3
	v_add_nc_u32_e32 v41, v18, v14
	v_lshlrev_b64 v[15:16], 1, v[16:17]
	s_delay_alu instid0(VALU_DEP_2) | instskip(NEXT) | instid1(VALU_DEP_1)
	v_ashrrev_i32_e32 v42, 31, v41
	v_lshlrev_b64 v[41:42], 1, v[41:42]
	s_delay_alu instid0(VALU_DEP_1) | instskip(NEXT) | instid1(VALU_DEP_1)
	v_add_co_u32 v41, s3, s14, v41
	v_add_co_ci_u32_e64 v42, s3, s28, v42, s3
	v_add_co_u32 v15, s3, v39, v15
	s_delay_alu instid0(VALU_DEP_1)
	v_add_co_ci_u32_e64 v16, s3, v40, v16, s3
	global_load_u16 v13, v[41:42], off
	s_waitcnt vmcnt(0)
	global_store_b16 v[15:16], v13, off
	s_branch .LBB22_56
.LBB22_59:
	s_nop 0
	s_sendmsg sendmsg(MSG_DEALLOC_VGPRS)
	s_endpgm
.LBB22_60:
                                        ; implicit-def: $vgpr4_vgpr5
	s_branch .LBB22_5
.LBB22_61:
                                        ; implicit-def: $vgpr7_vgpr8
	s_branch .LBB22_8
	.section	.rodata,"a",@progbits
	.p2align	6, 0x0
	.amdhsa_kernel _ZN2at6native12_GLOBAL__N_122max_pool_backward_nhwcIN3c104HalfEfEEvPKT_PKlillliiiiiiiiiiiiiiiPS5_
		.amdhsa_group_segment_fixed_size 0
		.amdhsa_private_segment_fixed_size 0
		.amdhsa_kernarg_size 376
		.amdhsa_user_sgpr_count 13
		.amdhsa_user_sgpr_dispatch_ptr 0
		.amdhsa_user_sgpr_queue_ptr 0
		.amdhsa_user_sgpr_kernarg_segment_ptr 1
		.amdhsa_user_sgpr_dispatch_id 0
		.amdhsa_user_sgpr_private_segment_size 0
		.amdhsa_wavefront_size32 1
		.amdhsa_uses_dynamic_stack 0
		.amdhsa_enable_private_segment 0
		.amdhsa_system_sgpr_workgroup_id_x 1
		.amdhsa_system_sgpr_workgroup_id_y 1
		.amdhsa_system_sgpr_workgroup_id_z 1
		.amdhsa_system_sgpr_workgroup_info 0
		.amdhsa_system_vgpr_workitem_id 2
		.amdhsa_next_free_vgpr 51
		.amdhsa_next_free_sgpr 48
		.amdhsa_reserve_vcc 1
		.amdhsa_float_round_mode_32 0
		.amdhsa_float_round_mode_16_64 0
		.amdhsa_float_denorm_mode_32 3
		.amdhsa_float_denorm_mode_16_64 3
		.amdhsa_dx10_clamp 1
		.amdhsa_ieee_mode 1
		.amdhsa_fp16_overflow 0
		.amdhsa_workgroup_processor_mode 1
		.amdhsa_memory_ordered 1
		.amdhsa_forward_progress 0
		.amdhsa_shared_vgpr_count 0
		.amdhsa_exception_fp_ieee_invalid_op 0
		.amdhsa_exception_fp_denorm_src 0
		.amdhsa_exception_fp_ieee_div_zero 0
		.amdhsa_exception_fp_ieee_overflow 0
		.amdhsa_exception_fp_ieee_underflow 0
		.amdhsa_exception_fp_ieee_inexact 0
		.amdhsa_exception_int_div_zero 0
	.end_amdhsa_kernel
	.section	.text._ZN2at6native12_GLOBAL__N_122max_pool_backward_nhwcIN3c104HalfEfEEvPKT_PKlillliiiiiiiiiiiiiiiPS5_,"axG",@progbits,_ZN2at6native12_GLOBAL__N_122max_pool_backward_nhwcIN3c104HalfEfEEvPKT_PKlillliiiiiiiiiiiiiiiPS5_,comdat
.Lfunc_end22:
	.size	_ZN2at6native12_GLOBAL__N_122max_pool_backward_nhwcIN3c104HalfEfEEvPKT_PKlillliiiiiiiiiiiiiiiPS5_, .Lfunc_end22-_ZN2at6native12_GLOBAL__N_122max_pool_backward_nhwcIN3c104HalfEfEEvPKT_PKlillliiiiiiiiiiiiiiiPS5_
                                        ; -- End function
	.section	.AMDGPU.csdata,"",@progbits
; Kernel info:
; codeLenInByte = 5040
; NumSgprs: 50
; NumVgprs: 51
; ScratchSize: 0
; MemoryBound: 0
; FloatMode: 240
; IeeeMode: 1
; LDSByteSize: 0 bytes/workgroup (compile time only)
; SGPRBlocks: 6
; VGPRBlocks: 6
; NumSGPRsForWavesPerEU: 50
; NumVGPRsForWavesPerEU: 51
; Occupancy: 16
; WaveLimiterHint : 0
; COMPUTE_PGM_RSRC2:SCRATCH_EN: 0
; COMPUTE_PGM_RSRC2:USER_SGPR: 13
; COMPUTE_PGM_RSRC2:TRAP_HANDLER: 0
; COMPUTE_PGM_RSRC2:TGID_X_EN: 1
; COMPUTE_PGM_RSRC2:TGID_Y_EN: 1
; COMPUTE_PGM_RSRC2:TGID_Z_EN: 1
; COMPUTE_PGM_RSRC2:TIDIG_COMP_CNT: 2
	.section	.text._ZN2at6native12_GLOBAL__N_122max_pool_backward_nchwIN3c104HalfEfiEEvPKT_PKlT1_SA_SA_SA_SA_SA_iiiiiiiiPS5_,"axG",@progbits,_ZN2at6native12_GLOBAL__N_122max_pool_backward_nchwIN3c104HalfEfiEEvPKT_PKlT1_SA_SA_SA_SA_SA_iiiiiiiiPS5_,comdat
	.globl	_ZN2at6native12_GLOBAL__N_122max_pool_backward_nchwIN3c104HalfEfiEEvPKT_PKlT1_SA_SA_SA_SA_SA_iiiiiiiiPS5_ ; -- Begin function _ZN2at6native12_GLOBAL__N_122max_pool_backward_nchwIN3c104HalfEfiEEvPKT_PKlT1_SA_SA_SA_SA_SA_iiiiiiiiPS5_
	.p2align	8
	.type	_ZN2at6native12_GLOBAL__N_122max_pool_backward_nchwIN3c104HalfEfiEEvPKT_PKlT1_SA_SA_SA_SA_SA_iiiiiiiiPS5_,@function
_ZN2at6native12_GLOBAL__N_122max_pool_backward_nchwIN3c104HalfEfiEEvPKT_PKlT1_SA_SA_SA_SA_SA_iiiiiiiiPS5_: ; @_ZN2at6native12_GLOBAL__N_122max_pool_backward_nchwIN3c104HalfEfiEEvPKT_PKlT1_SA_SA_SA_SA_SA_iiiiiiiiPS5_
; %bb.0:
	s_clause 0x1
	s_load_b32 s12, s[0:1], 0x5c
	s_load_b256 s[4:11], s[0:1], 0x10
	v_mov_b32_e32 v1, 0
	s_add_u32 s2, s0, 0x50
	s_addc_u32 s3, s1, 0
	s_waitcnt lgkmcnt(0)
	s_and_b32 s34, s12, 0xffff
	s_mul_i32 s12, s7, s6
	v_mad_u64_u32 v[2:3], null, s34, s13, v[0:1]
	s_ashr_i32 s13, s12, 31
	s_mov_b32 s6, exec_lo
	s_delay_alu instid0(VALU_DEP_1)
	v_cmpx_gt_i64_e64 s[12:13], v[2:3]
	s_cbranch_execz .LBB23_23
; %bb.1:
	s_load_b256 s[16:23], s[0:1], 0x30
	s_add_i32 s6, s10, -1
	s_add_i32 s24, s11, -1
	s_load_b32 s35, s[2:3], 0x0
	s_mul_i32 s36, s9, s8
	s_mov_b32 s33, 0
	s_mul_i32 s38, s36, s5
	s_waitcnt lgkmcnt(0)
	s_mul_i32 s6, s6, s20
	s_mul_i32 s24, s24, s21
	s_not_b32 s25, s6
	s_not_b32 s26, s24
	s_cmp_lt_i32 s14, s4
	s_mul_i32 s34, s35, s34
	s_cselect_b32 s27, -1, 0
	s_cmp_lt_i32 s15, s5
	s_cselect_b32 s28, -1, 0
	s_abs_i32 s29, s7
	s_abs_i32 s30, s16
	v_cvt_f32_u32_e32 v0, s29
	v_cvt_f32_u32_e32 v1, s30
	s_abs_i32 s31, s17
	s_sub_i32 s10, 0, s29
	v_cvt_f32_u32_e32 v4, s31
	v_rcp_iflag_f32_e32 v0, v0
	v_rcp_iflag_f32_e32 v1, v1
	s_sub_i32 s11, 0, s30
	s_sub_i32 s20, 0, s31
	v_rcp_iflag_f32_e32 v4, v4
	s_ashr_i32 s35, s7, 31
	s_ashr_i32 s16, s16, 31
	;; [unrolled: 1-line block ×3, first 2 shown]
	s_waitcnt_depctr 0xfff
	v_dual_mul_f32 v0, 0x4f7ffffe, v0 :: v_dual_mul_f32 v1, 0x4f7ffffe, v1
	s_delay_alu instid0(VALU_DEP_1) | instskip(NEXT) | instid1(VALU_DEP_2)
	v_cvt_u32_f32_e32 v0, v0
	v_cvt_u32_f32_e32 v5, v1
	s_delay_alu instid0(VALU_DEP_2) | instskip(NEXT) | instid1(VALU_DEP_2)
	v_mul_lo_u32 v1, s10, v0
	v_mul_lo_u32 v6, s11, v5
	s_delay_alu instid0(VALU_DEP_2) | instskip(SKIP_1) | instid1(VALU_DEP_3)
	v_mul_hi_u32 v1, v0, v1
	v_mul_f32_e32 v4, 0x4f7ffffe, v4
	v_mul_hi_u32 v6, v5, v6
	s_delay_alu instid0(VALU_DEP_3) | instskip(NEXT) | instid1(VALU_DEP_3)
	v_add_nc_u32_e32 v1, v0, v1
	v_cvt_u32_f32_e32 v4, v4
	s_delay_alu instid0(VALU_DEP_3) | instskip(NEXT) | instid1(VALU_DEP_2)
	v_add_nc_u32_e32 v9, v5, v6
	v_mul_lo_u32 v7, s20, v4
	s_clause 0x1
	s_load_b128 s[20:23], s[0:1], 0x0
	s_load_b64 s[10:11], s[0:1], 0x48
	s_mul_i32 s0, s14, s5
	s_delay_alu instid0(SALU_CYCLE_1) | instskip(NEXT) | instid1(SALU_CYCLE_1)
	s_add_i32 s0, s15, s0
	s_mul_i32 s37, s8, s0
	s_delay_alu instid0(VALU_DEP_1) | instskip(NEXT) | instid1(VALU_DEP_1)
	v_mul_hi_u32 v7, v4, v7
	v_add_nc_u32_e32 v10, v4, v7
	s_branch .LBB23_3
.LBB23_2:                               ;   in Loop: Header=BB23_3 Depth=1
	v_add_co_u32 v2, vcc_lo, v2, s34
	v_add_co_ci_u32_e32 v3, vcc_lo, 0, v3, vcc_lo
	s_delay_alu instid0(VALU_DEP_1) | instskip(SKIP_1) | instid1(SALU_CYCLE_1)
	v_cmp_le_i64_e32 vcc_lo, s[12:13], v[2:3]
	s_or_b32 s33, vcc_lo, s33
	s_and_not1_b32 exec_lo, exec_lo, s33
	s_cbranch_execz .LBB23_23
.LBB23_3:                               ; =>This Loop Header: Depth=1
                                        ;     Child Loop BB23_10 Depth 2
                                        ;       Child Loop BB23_14 Depth 3
                                        ;         Child Loop BB23_18 Depth 4
                                        ;           Child Loop BB23_21 Depth 5
	v_sub_nc_u32_e32 v0, 0, v2
	s_mov_b32 s0, exec_lo
	v_mov_b32_e32 v11, 0
	s_delay_alu instid0(VALU_DEP_2) | instskip(NEXT) | instid1(VALU_DEP_1)
	v_max_i32_e32 v0, v2, v0
	v_mul_hi_u32 v4, v0, v1
	s_delay_alu instid0(VALU_DEP_1) | instskip(NEXT) | instid1(VALU_DEP_1)
	v_mul_lo_u32 v5, v4, s29
	v_sub_nc_u32_e32 v0, v0, v5
	s_delay_alu instid0(VALU_DEP_1) | instskip(SKIP_1) | instid1(VALU_DEP_2)
	v_subrev_nc_u32_e32 v6, s29, v0
	v_cmp_le_u32_e32 vcc_lo, s29, v0
	v_dual_cndmask_b32 v0, v0, v6 :: v_dual_add_nc_u32 v5, 1, v4
	s_delay_alu instid0(VALU_DEP_1) | instskip(SKIP_1) | instid1(VALU_DEP_3)
	v_cndmask_b32_e32 v4, v4, v5, vcc_lo
	v_ashrrev_i32_e32 v5, 31, v2
	v_cmp_le_u32_e32 vcc_lo, s29, v0
	s_delay_alu instid0(VALU_DEP_3) | instskip(NEXT) | instid1(VALU_DEP_3)
	v_add_nc_u32_e32 v6, 1, v4
	v_xor_b32_e32 v5, s35, v5
	s_delay_alu instid0(VALU_DEP_2) | instskip(NEXT) | instid1(VALU_DEP_1)
	v_cndmask_b32_e32 v0, v4, v6, vcc_lo
	v_xor_b32_e32 v0, v0, v5
	s_delay_alu instid0(VALU_DEP_1) | instskip(SKIP_1) | instid1(VALU_DEP_2)
	v_sub_nc_u32_e32 v5, v0, v5
	v_mov_b32_e32 v0, 0
	v_add_nc_u32_e32 v4, s18, v5
	s_delay_alu instid0(VALU_DEP_1)
	v_cmpx_lt_i32_e64 s6, v4
	s_cbranch_execz .LBB23_5
; %bb.4:                                ;   in Loop: Header=BB23_3 Depth=1
	v_add_nc_u32_e32 v6, s25, v4
	s_delay_alu instid0(VALU_DEP_1) | instskip(NEXT) | instid1(VALU_DEP_1)
	v_sub_nc_u32_e32 v7, 0, v6
	v_max_i32_e32 v7, v6, v7
	s_delay_alu instid0(VALU_DEP_1) | instskip(NEXT) | instid1(VALU_DEP_1)
	v_mul_hi_u32 v8, v7, v9
	v_mul_lo_u32 v11, v8, s30
	s_delay_alu instid0(VALU_DEP_1) | instskip(SKIP_1) | instid1(VALU_DEP_2)
	v_sub_nc_u32_e32 v7, v7, v11
	v_add_nc_u32_e32 v11, 1, v8
	v_subrev_nc_u32_e32 v12, s30, v7
	v_cmp_le_u32_e32 vcc_lo, s30, v7
	s_delay_alu instid0(VALU_DEP_2) | instskip(NEXT) | instid1(VALU_DEP_1)
	v_dual_cndmask_b32 v8, v8, v11 :: v_dual_cndmask_b32 v7, v7, v12
	v_add_nc_u32_e32 v11, 1, v8
	s_delay_alu instid0(VALU_DEP_2) | instskip(NEXT) | instid1(VALU_DEP_2)
	v_cmp_le_u32_e32 vcc_lo, s30, v7
	v_cndmask_b32_e32 v7, v8, v11, vcc_lo
	v_ashrrev_i32_e32 v6, 31, v6
	s_delay_alu instid0(VALU_DEP_1) | instskip(NEXT) | instid1(VALU_DEP_1)
	v_xor_b32_e32 v6, s16, v6
	v_xor_b32_e32 v7, v7, v6
	s_delay_alu instid0(VALU_DEP_1) | instskip(NEXT) | instid1(VALU_DEP_1)
	v_sub_nc_u32_e32 v6, v7, v6
	v_add_nc_u32_e32 v11, 1, v6
.LBB23_5:                               ;   in Loop: Header=BB23_3 Depth=1
	s_or_b32 exec_lo, exec_lo, s0
	v_mul_lo_u32 v5, v5, s7
	s_mov_b32 s0, exec_lo
	s_delay_alu instid0(VALU_DEP_1) | instskip(NEXT) | instid1(VALU_DEP_1)
	v_sub_nc_u32_e32 v5, v2, v5
	v_add_nc_u32_e32 v5, s19, v5
	s_delay_alu instid0(VALU_DEP_1)
	v_cmpx_lt_i32_e64 s24, v5
	s_cbranch_execz .LBB23_7
; %bb.6:                                ;   in Loop: Header=BB23_3 Depth=1
	v_add_nc_u32_e32 v0, s26, v5
	s_delay_alu instid0(VALU_DEP_1) | instskip(NEXT) | instid1(VALU_DEP_1)
	v_sub_nc_u32_e32 v6, 0, v0
	v_max_i32_e32 v6, v0, v6
	s_delay_alu instid0(VALU_DEP_1) | instskip(NEXT) | instid1(VALU_DEP_1)
	v_mul_hi_u32 v7, v6, v10
	v_mul_lo_u32 v8, v7, s31
	s_delay_alu instid0(VALU_DEP_1) | instskip(SKIP_1) | instid1(VALU_DEP_2)
	v_sub_nc_u32_e32 v6, v6, v8
	v_add_nc_u32_e32 v8, 1, v7
	v_subrev_nc_u32_e32 v12, s31, v6
	v_cmp_le_u32_e32 vcc_lo, s31, v6
	s_delay_alu instid0(VALU_DEP_3) | instskip(NEXT) | instid1(VALU_DEP_3)
	v_cndmask_b32_e32 v7, v7, v8, vcc_lo
	v_cndmask_b32_e32 v6, v6, v12, vcc_lo
	v_ashrrev_i32_e32 v0, 31, v0
	s_delay_alu instid0(VALU_DEP_3) | instskip(NEXT) | instid1(VALU_DEP_3)
	v_add_nc_u32_e32 v8, 1, v7
	v_cmp_le_u32_e32 vcc_lo, s31, v6
	s_delay_alu instid0(VALU_DEP_3) | instskip(NEXT) | instid1(VALU_DEP_3)
	v_xor_b32_e32 v0, s17, v0
	v_cndmask_b32_e32 v6, v7, v8, vcc_lo
	s_delay_alu instid0(VALU_DEP_1) | instskip(NEXT) | instid1(VALU_DEP_1)
	v_xor_b32_e32 v6, v6, v0
	v_sub_nc_u32_e32 v0, v6, v0
	s_delay_alu instid0(VALU_DEP_1)
	v_add_nc_u32_e32 v0, 1, v0
.LBB23_7:                               ;   in Loop: Header=BB23_3 Depth=1
	s_or_b32 exec_lo, exec_lo, s0
	s_delay_alu instid0(SALU_CYCLE_1)
	s_and_not1_b32 vcc_lo, exec_lo, s27
	s_cbranch_vccnz .LBB23_2
; %bb.8:                                ;   in Loop: Header=BB23_3 Depth=1
	v_sub_nc_u32_e32 v6, 0, v5
	v_sub_nc_u32_e32 v7, 0, v4
	s_load_b32 s39, s[2:3], 0x4
	s_mov_b32 s41, s14
	s_delay_alu instid0(VALU_DEP_2) | instskip(NEXT) | instid1(VALU_DEP_2)
	v_max_i32_e32 v6, v5, v6
	v_max_i32_e32 v7, v4, v7
	v_ashrrev_i32_e32 v5, 31, v5
	v_ashrrev_i32_e32 v4, 31, v4
	s_delay_alu instid0(VALU_DEP_4) | instskip(NEXT) | instid1(VALU_DEP_4)
	v_mul_hi_u32 v8, v6, v10
	v_mul_hi_u32 v12, v7, v9
	s_delay_alu instid0(VALU_DEP_4) | instskip(NEXT) | instid1(VALU_DEP_4)
	v_xor_b32_e32 v5, s17, v5
	v_xor_b32_e32 v4, s16, v4
	s_delay_alu instid0(VALU_DEP_4) | instskip(NEXT) | instid1(VALU_DEP_4)
	v_mul_lo_u32 v13, v8, s31
	v_mul_lo_u32 v14, v12, s30
	s_waitcnt lgkmcnt(0)
	s_mul_i32 s40, s38, s39
	s_delay_alu instid0(VALU_DEP_2) | instskip(NEXT) | instid1(VALU_DEP_2)
	v_sub_nc_u32_e32 v6, v6, v13
	v_sub_nc_u32_e32 v7, v7, v14
	v_add_nc_u32_e32 v14, 1, v8
	s_delay_alu instid0(VALU_DEP_3) | instskip(NEXT) | instid1(VALU_DEP_3)
	v_cmp_le_u32_e64 s0, s31, v6
	v_subrev_nc_u32_e32 v16, s30, v7
	v_cmp_le_u32_e32 vcc_lo, s30, v7
	v_subrev_nc_u32_e32 v15, s31, v6
	s_delay_alu instid0(VALU_DEP_4) | instskip(NEXT) | instid1(VALU_DEP_4)
	v_cndmask_b32_e64 v8, v8, v14, s0
	v_cndmask_b32_e32 v7, v7, v16, vcc_lo
	s_delay_alu instid0(VALU_DEP_3) | instskip(NEXT) | instid1(VALU_DEP_3)
	v_cndmask_b32_e64 v6, v6, v15, s0
	v_add_nc_u32_e32 v14, 1, v8
	v_add_nc_u32_e32 v13, 1, v12
	s_delay_alu instid0(VALU_DEP_1) | instskip(SKIP_1) | instid1(VALU_DEP_2)
	v_cndmask_b32_e32 v12, v12, v13, vcc_lo
	v_cmp_le_u32_e32 vcc_lo, s30, v7
	v_add_nc_u32_e32 v13, 1, v12
	s_delay_alu instid0(VALU_DEP_1) | instskip(SKIP_1) | instid1(VALU_DEP_2)
	v_cndmask_b32_e32 v7, v12, v13, vcc_lo
	v_cmp_le_u32_e32 vcc_lo, s31, v6
	v_xor_b32_e32 v7, v7, v4
	v_cndmask_b32_e32 v6, v8, v14, vcc_lo
	v_add_nc_u32_e32 v8, s37, v11
	s_delay_alu instid0(VALU_DEP_3) | instskip(NEXT) | instid1(VALU_DEP_3)
	v_sub_nc_u32_e32 v4, v7, v4
	v_xor_b32_e32 v6, v6, v5
	s_delay_alu instid0(VALU_DEP_2) | instskip(NEXT) | instid1(VALU_DEP_2)
	v_add_nc_u32_e32 v4, 1, v4
	v_sub_nc_u32_e32 v5, v6, v5
	v_mad_u64_u32 v[6:7], null, s9, v8, v[0:1]
	s_delay_alu instid0(VALU_DEP_3) | instskip(NEXT) | instid1(VALU_DEP_3)
	v_min_i32_e32 v12, s8, v4
	v_dual_mov_b32 v4, v2 :: v_dual_add_nc_u32 v5, 1, v5
	s_delay_alu instid0(VALU_DEP_2) | instskip(NEXT) | instid1(VALU_DEP_2)
	v_cmp_lt_i32_e64 s0, v11, v12
	v_min_i32_e32 v13, s9, v5
	v_ashrrev_i32_e32 v5, 31, v2
	s_delay_alu instid0(VALU_DEP_2)
	v_cmp_lt_i32_e64 s1, v0, v13
	s_branch .LBB23_10
.LBB23_9:                               ;   in Loop: Header=BB23_10 Depth=2
	v_add_nc_u32_e32 v6, s40, v6
	s_add_i32 s41, s39, s41
	s_delay_alu instid0(SALU_CYCLE_1)
	s_cmp_ge_i32 s41, s4
	s_cbranch_scc1 .LBB23_2
.LBB23_10:                              ;   Parent Loop BB23_3 Depth=1
                                        ; =>  This Loop Header: Depth=2
                                        ;       Child Loop BB23_14 Depth 3
                                        ;         Child Loop BB23_18 Depth 4
                                        ;           Child Loop BB23_21 Depth 5
	s_and_not1_b32 vcc_lo, exec_lo, s28
	s_cbranch_vccnz .LBB23_9
; %bb.11:                               ;   in Loop: Header=BB23_10 Depth=2
	s_load_b32 s42, s[2:3], 0x8
	v_mov_b32_e32 v14, v6
	s_mul_i32 s43, s41, s5
	s_mov_b32 s45, s15
	s_waitcnt lgkmcnt(0)
	s_mul_i32 s44, s36, s42
	s_branch .LBB23_14
.LBB23_12:                              ;   in Loop: Header=BB23_14 Depth=3
	s_set_inst_prefetch_distance 0x2
	s_or_b32 exec_lo, exec_lo, s47
.LBB23_13:                              ;   in Loop: Header=BB23_14 Depth=3
	s_delay_alu instid0(SALU_CYCLE_1)
	s_or_b32 exec_lo, exec_lo, s46
	s_add_i32 s46, s45, s43
	v_cvt_f16_f32_e32 v15, v15
	v_mad_u64_u32 v[7:8], null, s12, s46, v[2:3]
	v_add_nc_u32_e32 v14, s44, v14
	s_add_i32 s45, s42, s45
	s_delay_alu instid0(SALU_CYCLE_1) | instskip(NEXT) | instid1(VALU_DEP_2)
	s_cmp_ge_i32 s45, s5
	v_ashrrev_i32_e32 v8, 31, v7
	s_delay_alu instid0(VALU_DEP_1) | instskip(NEXT) | instid1(VALU_DEP_1)
	v_lshlrev_b64 v[7:8], 1, v[7:8]
	v_add_co_u32 v7, vcc_lo, s10, v7
	s_delay_alu instid0(VALU_DEP_2)
	v_add_co_ci_u32_e32 v8, vcc_lo, s11, v8, vcc_lo
	global_store_b16 v[7:8], v15, off
	s_cbranch_scc1 .LBB23_9
.LBB23_14:                              ;   Parent Loop BB23_3 Depth=1
                                        ;     Parent Loop BB23_10 Depth=2
                                        ; =>    This Loop Header: Depth=3
                                        ;         Child Loop BB23_18 Depth 4
                                        ;           Child Loop BB23_21 Depth 5
	v_mov_b32_e32 v15, 0
	s_and_saveexec_b32 s46, s0
	s_cbranch_execz .LBB23_13
; %bb.15:                               ;   in Loop: Header=BB23_14 Depth=3
	v_dual_mov_b32 v15, 0 :: v_dual_mov_b32 v16, v14
	v_mov_b32_e32 v17, v11
	s_mov_b32 s47, 0
	s_set_inst_prefetch_distance 0x1
	s_branch .LBB23_18
	.p2align	6
.LBB23_16:                              ;   in Loop: Header=BB23_18 Depth=4
	s_or_b32 exec_lo, exec_lo, s49
.LBB23_17:                              ;   in Loop: Header=BB23_18 Depth=4
	s_delay_alu instid0(SALU_CYCLE_1) | instskip(SKIP_2) | instid1(VALU_DEP_2)
	s_or_b32 exec_lo, exec_lo, s48
	v_add_nc_u32_e32 v17, 1, v17
	v_add_nc_u32_e32 v16, s9, v16
	v_cmp_ge_i32_e32 vcc_lo, v17, v12
	s_or_b32 s47, vcc_lo, s47
	s_delay_alu instid0(SALU_CYCLE_1)
	s_and_not1_b32 exec_lo, exec_lo, s47
	s_cbranch_execz .LBB23_12
.LBB23_18:                              ;   Parent Loop BB23_3 Depth=1
                                        ;     Parent Loop BB23_10 Depth=2
                                        ;       Parent Loop BB23_14 Depth=3
                                        ; =>      This Loop Header: Depth=4
                                        ;           Child Loop BB23_21 Depth 5
	s_and_saveexec_b32 s48, s1
	s_cbranch_execz .LBB23_17
; %bb.19:                               ;   in Loop: Header=BB23_18 Depth=4
	v_mov_b32_e32 v7, v16
	v_mov_b32_e32 v18, v0
	s_mov_b32 s49, 0
	s_branch .LBB23_21
	.p2align	6
.LBB23_20:                              ;   in Loop: Header=BB23_21 Depth=5
	s_or_b32 exec_lo, exec_lo, s50
	v_add_nc_u32_e32 v18, 1, v18
	v_add_nc_u32_e32 v7, 1, v7
	s_delay_alu instid0(VALU_DEP_2) | instskip(SKIP_1) | instid1(SALU_CYCLE_1)
	v_cmp_ge_i32_e32 vcc_lo, v18, v13
	s_or_b32 s49, vcc_lo, s49
	s_and_not1_b32 exec_lo, exec_lo, s49
	s_cbranch_execz .LBB23_16
.LBB23_21:                              ;   Parent Loop BB23_3 Depth=1
                                        ;     Parent Loop BB23_10 Depth=2
                                        ;       Parent Loop BB23_14 Depth=3
                                        ;         Parent Loop BB23_18 Depth=4
                                        ; =>        This Inner Loop Header: Depth=5
	s_delay_alu instid0(VALU_DEP_2) | instskip(SKIP_1) | instid1(VALU_DEP_1)
	v_ashrrev_i32_e32 v8, 31, v7
	s_mov_b32 s50, exec_lo
	v_lshlrev_b64 v[19:20], 3, v[7:8]
	s_delay_alu instid0(VALU_DEP_1) | instskip(NEXT) | instid1(VALU_DEP_2)
	v_add_co_u32 v19, vcc_lo, s22, v19
	v_add_co_ci_u32_e32 v20, vcc_lo, s23, v20, vcc_lo
	global_load_b64 v[19:20], v[19:20], off
	s_waitcnt vmcnt(0)
	v_cmpx_eq_u64_e64 v[19:20], v[4:5]
	s_cbranch_execz .LBB23_20
; %bb.22:                               ;   in Loop: Header=BB23_21 Depth=5
	v_lshlrev_b64 v[19:20], 1, v[7:8]
	s_delay_alu instid0(VALU_DEP_1) | instskip(NEXT) | instid1(VALU_DEP_2)
	v_add_co_u32 v19, vcc_lo, s20, v19
	v_add_co_ci_u32_e32 v20, vcc_lo, s21, v20, vcc_lo
	global_load_u16 v8, v[19:20], off
	s_waitcnt vmcnt(0)
	v_cvt_f32_f16_e32 v8, v8
	s_delay_alu instid0(VALU_DEP_1)
	v_add_f32_e32 v15, v15, v8
	s_branch .LBB23_20
.LBB23_23:
	s_nop 0
	s_sendmsg sendmsg(MSG_DEALLOC_VGPRS)
	s_endpgm
	.section	.rodata,"a",@progbits
	.p2align	6, 0x0
	.amdhsa_kernel _ZN2at6native12_GLOBAL__N_122max_pool_backward_nchwIN3c104HalfEfiEEvPKT_PKlT1_SA_SA_SA_SA_SA_iiiiiiiiPS5_
		.amdhsa_group_segment_fixed_size 0
		.amdhsa_private_segment_fixed_size 0
		.amdhsa_kernarg_size 336
		.amdhsa_user_sgpr_count 13
		.amdhsa_user_sgpr_dispatch_ptr 0
		.amdhsa_user_sgpr_queue_ptr 0
		.amdhsa_user_sgpr_kernarg_segment_ptr 1
		.amdhsa_user_sgpr_dispatch_id 0
		.amdhsa_user_sgpr_private_segment_size 0
		.amdhsa_wavefront_size32 1
		.amdhsa_uses_dynamic_stack 0
		.amdhsa_enable_private_segment 0
		.amdhsa_system_sgpr_workgroup_id_x 1
		.amdhsa_system_sgpr_workgroup_id_y 1
		.amdhsa_system_sgpr_workgroup_id_z 1
		.amdhsa_system_sgpr_workgroup_info 0
		.amdhsa_system_vgpr_workitem_id 0
		.amdhsa_next_free_vgpr 21
		.amdhsa_next_free_sgpr 51
		.amdhsa_reserve_vcc 1
		.amdhsa_float_round_mode_32 0
		.amdhsa_float_round_mode_16_64 0
		.amdhsa_float_denorm_mode_32 3
		.amdhsa_float_denorm_mode_16_64 3
		.amdhsa_dx10_clamp 1
		.amdhsa_ieee_mode 1
		.amdhsa_fp16_overflow 0
		.amdhsa_workgroup_processor_mode 1
		.amdhsa_memory_ordered 1
		.amdhsa_forward_progress 0
		.amdhsa_shared_vgpr_count 0
		.amdhsa_exception_fp_ieee_invalid_op 0
		.amdhsa_exception_fp_denorm_src 0
		.amdhsa_exception_fp_ieee_div_zero 0
		.amdhsa_exception_fp_ieee_overflow 0
		.amdhsa_exception_fp_ieee_underflow 0
		.amdhsa_exception_fp_ieee_inexact 0
		.amdhsa_exception_int_div_zero 0
	.end_amdhsa_kernel
	.section	.text._ZN2at6native12_GLOBAL__N_122max_pool_backward_nchwIN3c104HalfEfiEEvPKT_PKlT1_SA_SA_SA_SA_SA_iiiiiiiiPS5_,"axG",@progbits,_ZN2at6native12_GLOBAL__N_122max_pool_backward_nchwIN3c104HalfEfiEEvPKT_PKlT1_SA_SA_SA_SA_SA_iiiiiiiiPS5_,comdat
.Lfunc_end23:
	.size	_ZN2at6native12_GLOBAL__N_122max_pool_backward_nchwIN3c104HalfEfiEEvPKT_PKlT1_SA_SA_SA_SA_SA_iiiiiiiiPS5_, .Lfunc_end23-_ZN2at6native12_GLOBAL__N_122max_pool_backward_nchwIN3c104HalfEfiEEvPKT_PKlT1_SA_SA_SA_SA_SA_iiiiiiiiPS5_
                                        ; -- End function
	.section	.AMDGPU.csdata,"",@progbits
; Kernel info:
; codeLenInByte = 1544
; NumSgprs: 53
; NumVgprs: 21
; ScratchSize: 0
; MemoryBound: 0
; FloatMode: 240
; IeeeMode: 1
; LDSByteSize: 0 bytes/workgroup (compile time only)
; SGPRBlocks: 6
; VGPRBlocks: 2
; NumSGPRsForWavesPerEU: 53
; NumVGPRsForWavesPerEU: 21
; Occupancy: 16
; WaveLimiterHint : 0
; COMPUTE_PGM_RSRC2:SCRATCH_EN: 0
; COMPUTE_PGM_RSRC2:USER_SGPR: 13
; COMPUTE_PGM_RSRC2:TRAP_HANDLER: 0
; COMPUTE_PGM_RSRC2:TGID_X_EN: 1
; COMPUTE_PGM_RSRC2:TGID_Y_EN: 1
; COMPUTE_PGM_RSRC2:TGID_Z_EN: 1
; COMPUTE_PGM_RSRC2:TIDIG_COMP_CNT: 0
	.section	.text._ZN2at6native12_GLOBAL__N_122max_pool_backward_nchwIN3c104HalfEflEEvPKT_PKlT1_SA_SA_SA_SA_SA_iiiiiiiiPS5_,"axG",@progbits,_ZN2at6native12_GLOBAL__N_122max_pool_backward_nchwIN3c104HalfEflEEvPKT_PKlT1_SA_SA_SA_SA_SA_iiiiiiiiPS5_,comdat
	.globl	_ZN2at6native12_GLOBAL__N_122max_pool_backward_nchwIN3c104HalfEflEEvPKT_PKlT1_SA_SA_SA_SA_SA_iiiiiiiiPS5_ ; -- Begin function _ZN2at6native12_GLOBAL__N_122max_pool_backward_nchwIN3c104HalfEflEEvPKT_PKlT1_SA_SA_SA_SA_SA_iiiiiiiiPS5_
	.p2align	8
	.type	_ZN2at6native12_GLOBAL__N_122max_pool_backward_nchwIN3c104HalfEflEEvPKT_PKlT1_SA_SA_SA_SA_SA_iiiiiiiiPS5_,@function
_ZN2at6native12_GLOBAL__N_122max_pool_backward_nchwIN3c104HalfEflEEvPKT_PKlT1_SA_SA_SA_SA_SA_iiiiiiiiPS5_: ; @_ZN2at6native12_GLOBAL__N_122max_pool_backward_nchwIN3c104HalfEflEEvPKT_PKlT1_SA_SA_SA_SA_SA_iiiiiiiiPS5_
; %bb.0:
	s_clause 0x1
	s_load_b32 s2, s[0:1], 0x74
	s_load_b512 s[16:31], s[0:1], 0x0
	v_mov_b32_e32 v2, 0
	s_add_u32 s34, s0, 0x68
	s_addc_u32 s35, s1, 0
	s_delay_alu instid0(VALU_DEP_1) | instskip(SKIP_3) | instid1(VALU_DEP_1)
	v_mov_b32_e32 v1, v2
	s_waitcnt lgkmcnt(0)
	s_and_b32 s2, s2, 0xffff
	s_mul_i32 s3, s26, s25
	v_mad_u64_u32 v[4:5], null, s2, s13, v[0:1]
	s_mul_hi_u32 s4, s26, s24
	s_delay_alu instid0(SALU_CYCLE_1) | instskip(SKIP_4) | instid1(VALU_DEP_1)
	s_add_i32 s3, s4, s3
	s_mul_i32 s4, s27, s24
	s_mul_i32 s24, s26, s24
	s_add_i32 s25, s3, s4
	s_mov_b32 s3, exec_lo
	v_cmpx_gt_i64_e64 s[24:25], v[4:5]
	s_cbranch_execz .LBB24_43
; %bb.1:
	s_clause 0x1
	s_load_b256 s[4:11], s[0:1], 0x40
	s_load_b64 s[36:37], s[0:1], 0x60
	s_load_b32 s0, s[34:35], 0x0
	s_mul_i32 s1, s23, s14
	s_mul_hi_u32 s3, s22, s14
	v_cvt_f32_u32_e32 v0, s26
	s_add_i32 s3, s3, s1
	s_mov_b32 s12, s15
	s_mul_i32 s38, s22, s14
	s_mov_b32 s15, 0
	v_rcp_iflag_f32_e32 v0, v0
	s_mov_b32 s13, s15
	v_cmp_lt_i64_e64 s33, s[14:15], s[20:21]
	v_cmp_lt_i64_e64 s50, s[12:13], s[22:23]
	s_mov_b32 s62, s15
	s_waitcnt_depctr 0xfff
	v_mul_f32_e32 v0, 0x4f7ffffe, v0
	s_waitcnt lgkmcnt(0)
	s_add_i32 s1, s4, -1
	s_add_i32 s4, s5, -1
	s_mul_i32 s1, s1, s10
	s_mul_i32 s5, s4, s11
	s_ashr_i32 s53, s6, 31
	s_mov_b32 s54, s6
	s_add_i32 s4, s1, 1
	s_add_i32 s6, s5, 1
	s_ashr_i32 s51, s8, 31
	s_ashr_i32 s55, s9, 31
	;; [unrolled: 1-line block ×3, first 2 shown]
	s_mov_b32 s58, s7
	s_ashr_i32 s5, s4, 31
	s_ashr_i32 s7, s6, 31
	s_mov_b32 s52, s8
	s_add_u32 s8, s38, s12
	s_addc_u32 s1, s3, 0
	s_mul_hi_u32 s3, s28, s8
	s_mul_i32 s1, s28, s1
	s_mul_i32 s59, s0, s2
	s_add_i32 s0, s3, s1
	s_mul_i32 s1, s29, s8
	s_mul_i32 s2, s30, s29
	s_mul_hi_u32 s3, s30, s28
	s_add_i32 s60, s0, s1
	s_add_i32 s1, s3, s2
	s_mul_i32 s0, s30, s28
	s_mul_i32 s2, s31, s28
	s_mov_b32 s56, s9
	s_mul_i32 s3, s0, s23
	s_mul_hi_u32 s9, s0, s22
	s_add_i32 s1, s1, s2
	s_add_i32 s2, s9, s3
	s_mul_i32 s3, s1, s22
	v_cvt_u32_f32_e32 v32, v0
	s_add_i32 s3, s2, s3
	s_mul_i32 s2, s0, s22
	s_mul_i32 s61, s28, s8
	s_lshl_b64 s[8:9], s[2:3], 3
	s_lshl_b64 s[10:11], s[0:1], 3
	;; [unrolled: 1-line block ×6, first 2 shown]
	s_branch .LBB24_3
.LBB24_2:                               ;   in Loop: Header=BB24_3 Depth=1
	v_add_co_u32 v4, vcc_lo, v4, s59
	v_add_co_ci_u32_e32 v5, vcc_lo, 0, v5, vcc_lo
	s_delay_alu instid0(VALU_DEP_1) | instskip(SKIP_1) | instid1(SALU_CYCLE_1)
	v_cmp_le_i64_e32 vcc_lo, s[24:25], v[4:5]
	s_or_b32 s62, vcc_lo, s62
	s_and_not1_b32 exec_lo, exec_lo, s62
	s_cbranch_execz .LBB24_43
.LBB24_3:                               ; =>This Loop Header: Depth=1
                                        ;     Child Loop BB24_30 Depth 2
                                        ;       Child Loop BB24_34 Depth 3
                                        ;         Child Loop BB24_38 Depth 4
                                        ;           Child Loop BB24_41 Depth 5
	v_or_b32_e32 v3, s27, v5
                                        ; implicit-def: $vgpr6_vgpr7
	s_mov_b32 s0, exec_lo
	s_delay_alu instid0(VALU_DEP_1)
	v_cmpx_ne_u64_e32 0, v[2:3]
	s_xor_b32 s1, exec_lo, s0
	s_cbranch_execz .LBB24_5
; %bb.4:                                ;   in Loop: Header=BB24_3 Depth=1
	s_ashr_i32 s2, s27, 31
	s_delay_alu instid0(SALU_CYCLE_1) | instskip(SKIP_2) | instid1(SALU_CYCLE_1)
	s_add_u32 s46, s26, s2
	s_mov_b32 s3, s2
	s_addc_u32 s47, s27, s2
	s_xor_b64 s[46:47], s[46:47], s[2:3]
	s_delay_alu instid0(SALU_CYCLE_1) | instskip(SKIP_3) | instid1(VALU_DEP_1)
	v_cvt_f32_u32_e32 v0, s46
	v_cvt_f32_u32_e32 v1, s47
	s_sub_u32 s0, 0, s46
	s_subb_u32 s3, 0, s47
	v_fmac_f32_e32 v0, 0x4f800000, v1
	s_delay_alu instid0(VALU_DEP_1) | instskip(SKIP_2) | instid1(VALU_DEP_1)
	v_rcp_f32_e32 v0, v0
	s_waitcnt_depctr 0xfff
	v_mul_f32_e32 v0, 0x5f7ffffc, v0
	v_mul_f32_e32 v1, 0x2f800000, v0
	s_delay_alu instid0(VALU_DEP_1) | instskip(NEXT) | instid1(VALU_DEP_1)
	v_trunc_f32_e32 v1, v1
	v_fmac_f32_e32 v0, 0xcf800000, v1
	v_cvt_u32_f32_e32 v1, v1
	s_delay_alu instid0(VALU_DEP_2) | instskip(NEXT) | instid1(VALU_DEP_2)
	v_cvt_u32_f32_e32 v0, v0
	v_mul_lo_u32 v3, s0, v1
	s_delay_alu instid0(VALU_DEP_2) | instskip(SKIP_1) | instid1(VALU_DEP_2)
	v_mul_hi_u32 v6, s0, v0
	v_mul_lo_u32 v7, s3, v0
	v_add_nc_u32_e32 v3, v6, v3
	v_mul_lo_u32 v6, s0, v0
	s_delay_alu instid0(VALU_DEP_2) | instskip(NEXT) | instid1(VALU_DEP_2)
	v_add_nc_u32_e32 v3, v3, v7
	v_mul_hi_u32 v7, v0, v6
	s_delay_alu instid0(VALU_DEP_2)
	v_mul_lo_u32 v8, v0, v3
	v_mul_hi_u32 v9, v0, v3
	v_mul_hi_u32 v10, v1, v6
	v_mul_lo_u32 v6, v1, v6
	v_mul_hi_u32 v11, v1, v3
	v_mul_lo_u32 v3, v1, v3
	v_add_co_u32 v7, vcc_lo, v7, v8
	v_add_co_ci_u32_e32 v8, vcc_lo, 0, v9, vcc_lo
	s_delay_alu instid0(VALU_DEP_2) | instskip(NEXT) | instid1(VALU_DEP_2)
	v_add_co_u32 v6, vcc_lo, v7, v6
	v_add_co_ci_u32_e32 v6, vcc_lo, v8, v10, vcc_lo
	v_add_co_ci_u32_e32 v7, vcc_lo, 0, v11, vcc_lo
	v_ashrrev_i32_e32 v10, 31, v5
	s_delay_alu instid0(VALU_DEP_3) | instskip(NEXT) | instid1(VALU_DEP_3)
	v_add_co_u32 v3, vcc_lo, v6, v3
	v_add_co_ci_u32_e32 v6, vcc_lo, 0, v7, vcc_lo
	s_delay_alu instid0(VALU_DEP_2) | instskip(NEXT) | instid1(VALU_DEP_2)
	v_add_co_u32 v0, vcc_lo, v0, v3
	v_add_co_ci_u32_e32 v1, vcc_lo, v1, v6, vcc_lo
	s_delay_alu instid0(VALU_DEP_2) | instskip(SKIP_1) | instid1(VALU_DEP_3)
	v_mul_hi_u32 v3, s0, v0
	v_mul_lo_u32 v7, s3, v0
	v_mul_lo_u32 v6, s0, v1
	s_delay_alu instid0(VALU_DEP_1) | instskip(SKIP_1) | instid1(VALU_DEP_2)
	v_add_nc_u32_e32 v3, v3, v6
	v_mul_lo_u32 v6, s0, v0
	v_add_nc_u32_e32 v3, v3, v7
	s_delay_alu instid0(VALU_DEP_2) | instskip(NEXT) | instid1(VALU_DEP_2)
	v_mul_hi_u32 v7, v0, v6
	v_mul_lo_u32 v8, v0, v3
	v_mul_hi_u32 v9, v0, v3
	v_mul_hi_u32 v11, v1, v6
	v_mul_lo_u32 v6, v1, v6
	v_mul_hi_u32 v12, v1, v3
	v_mul_lo_u32 v3, v1, v3
	v_add_co_u32 v7, vcc_lo, v7, v8
	v_add_co_ci_u32_e32 v8, vcc_lo, 0, v9, vcc_lo
	s_delay_alu instid0(VALU_DEP_2) | instskip(NEXT) | instid1(VALU_DEP_2)
	v_add_co_u32 v6, vcc_lo, v7, v6
	v_add_co_ci_u32_e32 v6, vcc_lo, v8, v11, vcc_lo
	v_add_co_ci_u32_e32 v7, vcc_lo, 0, v12, vcc_lo
	v_add_co_u32 v8, vcc_lo, v4, v10
	v_add_co_ci_u32_e32 v9, vcc_lo, v5, v10, vcc_lo
	s_delay_alu instid0(VALU_DEP_4) | instskip(NEXT) | instid1(VALU_DEP_4)
	v_add_co_u32 v3, vcc_lo, v6, v3
	v_add_co_ci_u32_e32 v6, vcc_lo, 0, v7, vcc_lo
	s_delay_alu instid0(VALU_DEP_4) | instskip(NEXT) | instid1(VALU_DEP_3)
	v_xor_b32_e32 v11, v8, v10
	v_add_co_u32 v3, vcc_lo, v0, v3
	s_delay_alu instid0(VALU_DEP_3) | instskip(SKIP_1) | instid1(VALU_DEP_3)
	v_add_co_ci_u32_e32 v12, vcc_lo, v1, v6, vcc_lo
	v_xor_b32_e32 v13, v9, v10
	v_mul_hi_u32 v14, v11, v3
	s_delay_alu instid0(VALU_DEP_3) | instskip(NEXT) | instid1(VALU_DEP_3)
	v_mad_u64_u32 v[0:1], null, v11, v12, 0
	v_mad_u64_u32 v[6:7], null, v13, v3, 0
	;; [unrolled: 1-line block ×3, first 2 shown]
	s_delay_alu instid0(VALU_DEP_3) | instskip(NEXT) | instid1(VALU_DEP_4)
	v_add_co_u32 v0, vcc_lo, v14, v0
	v_add_co_ci_u32_e32 v1, vcc_lo, 0, v1, vcc_lo
	s_delay_alu instid0(VALU_DEP_2) | instskip(NEXT) | instid1(VALU_DEP_2)
	v_add_co_u32 v0, vcc_lo, v0, v6
	v_add_co_ci_u32_e32 v0, vcc_lo, v1, v7, vcc_lo
	v_add_co_ci_u32_e32 v1, vcc_lo, 0, v9, vcc_lo
	s_delay_alu instid0(VALU_DEP_2) | instskip(NEXT) | instid1(VALU_DEP_2)
	v_add_co_u32 v3, vcc_lo, v0, v8
	v_add_co_ci_u32_e32 v6, vcc_lo, 0, v1, vcc_lo
	s_delay_alu instid0(VALU_DEP_2) | instskip(SKIP_1) | instid1(VALU_DEP_3)
	v_mul_lo_u32 v7, s47, v3
	v_mad_u64_u32 v[0:1], null, s46, v3, 0
	v_mul_lo_u32 v8, s46, v6
	s_delay_alu instid0(VALU_DEP_2) | instskip(NEXT) | instid1(VALU_DEP_2)
	v_sub_co_u32 v0, vcc_lo, v11, v0
	v_add3_u32 v1, v1, v8, v7
	s_delay_alu instid0(VALU_DEP_1) | instskip(NEXT) | instid1(VALU_DEP_1)
	v_sub_nc_u32_e32 v7, v13, v1
	v_subrev_co_ci_u32_e64 v7, s0, s47, v7, vcc_lo
	v_add_co_u32 v8, s0, v3, 2
	s_delay_alu instid0(VALU_DEP_1) | instskip(SKIP_3) | instid1(VALU_DEP_3)
	v_add_co_ci_u32_e64 v9, s0, 0, v6, s0
	v_sub_co_u32 v11, s0, v0, s46
	v_sub_co_ci_u32_e32 v1, vcc_lo, v13, v1, vcc_lo
	v_subrev_co_ci_u32_e64 v7, s0, 0, v7, s0
	v_cmp_le_u32_e32 vcc_lo, s46, v11
	s_delay_alu instid0(VALU_DEP_3) | instskip(SKIP_1) | instid1(VALU_DEP_4)
	v_cmp_eq_u32_e64 s0, s47, v1
	v_cndmask_b32_e64 v11, 0, -1, vcc_lo
	v_cmp_le_u32_e32 vcc_lo, s47, v7
	v_cndmask_b32_e64 v12, 0, -1, vcc_lo
	v_cmp_le_u32_e32 vcc_lo, s46, v0
	;; [unrolled: 2-line block ×3, first 2 shown]
	v_cndmask_b32_e64 v13, 0, -1, vcc_lo
	v_cmp_eq_u32_e32 vcc_lo, s47, v7
	s_delay_alu instid0(VALU_DEP_2) | instskip(SKIP_3) | instid1(VALU_DEP_3)
	v_cndmask_b32_e64 v0, v13, v0, s0
	v_cndmask_b32_e32 v7, v12, v11, vcc_lo
	v_add_co_u32 v11, vcc_lo, v3, 1
	v_add_co_ci_u32_e32 v12, vcc_lo, 0, v6, vcc_lo
	v_cmp_ne_u32_e32 vcc_lo, 0, v7
	s_delay_alu instid0(VALU_DEP_2) | instskip(NEXT) | instid1(VALU_DEP_4)
	v_cndmask_b32_e32 v1, v12, v9, vcc_lo
	v_cndmask_b32_e32 v7, v11, v8, vcc_lo
	v_cmp_ne_u32_e32 vcc_lo, 0, v0
	v_xor_b32_e32 v0, s2, v10
	s_delay_alu instid0(VALU_DEP_3) | instskip(SKIP_1) | instid1(VALU_DEP_2)
	v_cndmask_b32_e32 v3, v3, v7, vcc_lo
	v_cndmask_b32_e32 v1, v6, v1, vcc_lo
	v_xor_b32_e32 v3, v3, v0
	s_delay_alu instid0(VALU_DEP_2) | instskip(NEXT) | instid1(VALU_DEP_2)
	v_xor_b32_e32 v1, v1, v0
	v_sub_co_u32 v6, vcc_lo, v3, v0
	s_delay_alu instid0(VALU_DEP_2)
	v_sub_co_ci_u32_e32 v7, vcc_lo, v1, v0, vcc_lo
.LBB24_5:                               ;   in Loop: Header=BB24_3 Depth=1
	s_and_not1_saveexec_b32 s0, s1
	s_cbranch_execz .LBB24_7
; %bb.6:                                ;   in Loop: Header=BB24_3 Depth=1
	s_sub_i32 s1, 0, s26
	v_mov_b32_e32 v7, v2
	v_mul_lo_u32 v0, s1, v32
	s_delay_alu instid0(VALU_DEP_1) | instskip(NEXT) | instid1(VALU_DEP_1)
	v_mul_hi_u32 v0, v32, v0
	v_add_nc_u32_e32 v0, v32, v0
	s_delay_alu instid0(VALU_DEP_1) | instskip(NEXT) | instid1(VALU_DEP_1)
	v_mul_hi_u32 v0, v4, v0
	v_mul_lo_u32 v1, v0, s26
	v_add_nc_u32_e32 v3, 1, v0
	s_delay_alu instid0(VALU_DEP_2) | instskip(NEXT) | instid1(VALU_DEP_1)
	v_sub_nc_u32_e32 v1, v4, v1
	v_subrev_nc_u32_e32 v6, s26, v1
	v_cmp_le_u32_e32 vcc_lo, s26, v1
	s_delay_alu instid0(VALU_DEP_2) | instskip(NEXT) | instid1(VALU_DEP_1)
	v_dual_cndmask_b32 v1, v1, v6 :: v_dual_cndmask_b32 v0, v0, v3
	v_cmp_le_u32_e32 vcc_lo, s26, v1
	s_delay_alu instid0(VALU_DEP_2) | instskip(NEXT) | instid1(VALU_DEP_1)
	v_add_nc_u32_e32 v3, 1, v0
	v_cndmask_b32_e32 v6, v0, v3, vcc_lo
.LBB24_7:                               ;   in Loop: Header=BB24_3 Depth=1
	s_or_b32 exec_lo, exec_lo, s0
	s_delay_alu instid0(VALU_DEP_1) | instskip(SKIP_4) | instid1(VALU_DEP_2)
	v_add_co_u32 v10, vcc_lo, v6, s52
	v_mov_b32_e32 v0, 0
	v_add_co_ci_u32_e32 v11, vcc_lo, s51, v7, vcc_lo
	v_mov_b32_e32 v1, 0
	s_mov_b32 s1, exec_lo
	v_cmpx_le_i64_e64 s[4:5], v[10:11]
	s_cbranch_execz .LBB24_13
; %bb.8:                                ;   in Loop: Header=BB24_3 Depth=1
	v_sub_co_u32 v8, vcc_lo, v10, s4
	v_subrev_co_ci_u32_e32 v9, vcc_lo, s5, v11, vcc_lo
                                        ; implicit-def: $vgpr0_vgpr1
	s_mov_b32 s0, exec_lo
	s_delay_alu instid0(VALU_DEP_1) | instskip(NEXT) | instid1(VALU_DEP_1)
	v_or_b32_e32 v3, s53, v9
	v_cmpx_ne_u64_e32 0, v[2:3]
	s_xor_b32 s48, exec_lo, s0
	s_cbranch_execz .LBB24_10
; %bb.9:                                ;   in Loop: Header=BB24_3 Depth=1
	s_add_u32 s46, s54, s53
	s_mov_b32 s2, s53
	s_mov_b32 s3, s53
	s_addc_u32 s47, s53, s53
	s_delay_alu instid0(SALU_CYCLE_1) | instskip(NEXT) | instid1(SALU_CYCLE_1)
	s_xor_b64 s[46:47], s[46:47], s[2:3]
	v_cvt_f32_u32_e32 v0, s46
	v_cvt_f32_u32_e32 v1, s47
	s_sub_u32 s0, 0, s46
	s_subb_u32 s49, 0, s47
	s_delay_alu instid0(VALU_DEP_1) | instskip(NEXT) | instid1(VALU_DEP_1)
	v_fmac_f32_e32 v0, 0x4f800000, v1
	v_rcp_f32_e32 v0, v0
	s_waitcnt_depctr 0xfff
	v_mul_f32_e32 v0, 0x5f7ffffc, v0
	s_delay_alu instid0(VALU_DEP_1) | instskip(NEXT) | instid1(VALU_DEP_1)
	v_mul_f32_e32 v1, 0x2f800000, v0
	v_trunc_f32_e32 v1, v1
	s_delay_alu instid0(VALU_DEP_1) | instskip(SKIP_1) | instid1(VALU_DEP_2)
	v_fmac_f32_e32 v0, 0xcf800000, v1
	v_cvt_u32_f32_e32 v1, v1
	v_cvt_u32_f32_e32 v0, v0
	s_delay_alu instid0(VALU_DEP_2) | instskip(NEXT) | instid1(VALU_DEP_2)
	v_mul_lo_u32 v3, s0, v1
	v_mul_hi_u32 v12, s0, v0
	v_mul_lo_u32 v13, s49, v0
	s_delay_alu instid0(VALU_DEP_2) | instskip(SKIP_1) | instid1(VALU_DEP_2)
	v_add_nc_u32_e32 v3, v12, v3
	v_mul_lo_u32 v12, s0, v0
	v_add_nc_u32_e32 v3, v3, v13
	s_delay_alu instid0(VALU_DEP_2) | instskip(NEXT) | instid1(VALU_DEP_2)
	v_mul_hi_u32 v13, v0, v12
	v_mul_lo_u32 v14, v0, v3
	v_mul_hi_u32 v15, v0, v3
	v_mul_hi_u32 v16, v1, v12
	v_mul_lo_u32 v12, v1, v12
	v_mul_hi_u32 v17, v1, v3
	v_mul_lo_u32 v3, v1, v3
	v_add_co_u32 v13, vcc_lo, v13, v14
	v_add_co_ci_u32_e32 v14, vcc_lo, 0, v15, vcc_lo
	s_delay_alu instid0(VALU_DEP_2) | instskip(NEXT) | instid1(VALU_DEP_2)
	v_add_co_u32 v12, vcc_lo, v13, v12
	v_add_co_ci_u32_e32 v12, vcc_lo, v14, v16, vcc_lo
	v_add_co_ci_u32_e32 v13, vcc_lo, 0, v17, vcc_lo
	v_ashrrev_i32_e32 v16, 31, v9
	s_delay_alu instid0(VALU_DEP_3) | instskip(NEXT) | instid1(VALU_DEP_3)
	v_add_co_u32 v3, vcc_lo, v12, v3
	v_add_co_ci_u32_e32 v12, vcc_lo, 0, v13, vcc_lo
	s_delay_alu instid0(VALU_DEP_2) | instskip(NEXT) | instid1(VALU_DEP_2)
	v_add_co_u32 v0, vcc_lo, v0, v3
	v_add_co_ci_u32_e32 v1, vcc_lo, v1, v12, vcc_lo
	s_delay_alu instid0(VALU_DEP_2) | instskip(SKIP_1) | instid1(VALU_DEP_3)
	v_mul_hi_u32 v3, s0, v0
	v_mul_lo_u32 v13, s49, v0
	v_mul_lo_u32 v12, s0, v1
	s_delay_alu instid0(VALU_DEP_1) | instskip(SKIP_1) | instid1(VALU_DEP_2)
	v_add_nc_u32_e32 v3, v3, v12
	v_mul_lo_u32 v12, s0, v0
	v_add_nc_u32_e32 v3, v3, v13
	s_delay_alu instid0(VALU_DEP_2) | instskip(NEXT) | instid1(VALU_DEP_2)
	v_mul_hi_u32 v13, v0, v12
	v_mul_lo_u32 v14, v0, v3
	v_mul_hi_u32 v15, v0, v3
	v_mul_hi_u32 v17, v1, v12
	v_mul_lo_u32 v12, v1, v12
	v_mul_hi_u32 v18, v1, v3
	v_mul_lo_u32 v3, v1, v3
	v_add_co_u32 v13, vcc_lo, v13, v14
	v_add_co_ci_u32_e32 v14, vcc_lo, 0, v15, vcc_lo
	s_delay_alu instid0(VALU_DEP_2) | instskip(NEXT) | instid1(VALU_DEP_2)
	v_add_co_u32 v12, vcc_lo, v13, v12
	v_add_co_ci_u32_e32 v12, vcc_lo, v14, v17, vcc_lo
	v_add_co_ci_u32_e32 v13, vcc_lo, 0, v18, vcc_lo
	v_add_co_u32 v8, vcc_lo, v8, v16
	v_add_co_ci_u32_e32 v9, vcc_lo, v9, v16, vcc_lo
	s_delay_alu instid0(VALU_DEP_4) | instskip(NEXT) | instid1(VALU_DEP_4)
	v_add_co_u32 v3, vcc_lo, v12, v3
	v_add_co_ci_u32_e32 v12, vcc_lo, 0, v13, vcc_lo
	s_delay_alu instid0(VALU_DEP_4) | instskip(NEXT) | instid1(VALU_DEP_3)
	v_xor_b32_e32 v14, v8, v16
	v_add_co_u32 v3, vcc_lo, v0, v3
	s_delay_alu instid0(VALU_DEP_3) | instskip(SKIP_1) | instid1(VALU_DEP_3)
	v_add_co_ci_u32_e32 v15, vcc_lo, v1, v12, vcc_lo
	v_xor_b32_e32 v17, v9, v16
	v_mul_hi_u32 v18, v14, v3
	s_delay_alu instid0(VALU_DEP_3) | instskip(NEXT) | instid1(VALU_DEP_3)
	v_mad_u64_u32 v[0:1], null, v14, v15, 0
	v_mad_u64_u32 v[8:9], null, v17, v3, 0
	;; [unrolled: 1-line block ×3, first 2 shown]
	s_delay_alu instid0(VALU_DEP_3) | instskip(NEXT) | instid1(VALU_DEP_4)
	v_add_co_u32 v0, vcc_lo, v18, v0
	v_add_co_ci_u32_e32 v1, vcc_lo, 0, v1, vcc_lo
	s_delay_alu instid0(VALU_DEP_2) | instskip(NEXT) | instid1(VALU_DEP_2)
	v_add_co_u32 v0, vcc_lo, v0, v8
	v_add_co_ci_u32_e32 v0, vcc_lo, v1, v9, vcc_lo
	v_add_co_ci_u32_e32 v1, vcc_lo, 0, v13, vcc_lo
	s_delay_alu instid0(VALU_DEP_2) | instskip(NEXT) | instid1(VALU_DEP_2)
	v_add_co_u32 v3, vcc_lo, v0, v12
	v_add_co_ci_u32_e32 v8, vcc_lo, 0, v1, vcc_lo
	s_delay_alu instid0(VALU_DEP_2) | instskip(SKIP_1) | instid1(VALU_DEP_3)
	v_mul_lo_u32 v9, s47, v3
	v_mad_u64_u32 v[0:1], null, s46, v3, 0
	v_mul_lo_u32 v12, s46, v8
	s_delay_alu instid0(VALU_DEP_2) | instskip(NEXT) | instid1(VALU_DEP_2)
	v_sub_co_u32 v0, vcc_lo, v14, v0
	v_add3_u32 v1, v1, v12, v9
	s_delay_alu instid0(VALU_DEP_1) | instskip(NEXT) | instid1(VALU_DEP_1)
	v_sub_nc_u32_e32 v9, v17, v1
	v_subrev_co_ci_u32_e64 v9, s0, s47, v9, vcc_lo
	v_add_co_u32 v12, s0, v3, 2
	s_delay_alu instid0(VALU_DEP_1) | instskip(SKIP_3) | instid1(VALU_DEP_3)
	v_add_co_ci_u32_e64 v13, s0, 0, v8, s0
	v_sub_co_u32 v14, s0, v0, s46
	v_sub_co_ci_u32_e32 v1, vcc_lo, v17, v1, vcc_lo
	v_subrev_co_ci_u32_e64 v9, s0, 0, v9, s0
	v_cmp_le_u32_e32 vcc_lo, s46, v14
	s_delay_alu instid0(VALU_DEP_3) | instskip(SKIP_1) | instid1(VALU_DEP_4)
	v_cmp_eq_u32_e64 s0, s47, v1
	v_cndmask_b32_e64 v14, 0, -1, vcc_lo
	v_cmp_le_u32_e32 vcc_lo, s47, v9
	v_cndmask_b32_e64 v15, 0, -1, vcc_lo
	v_cmp_le_u32_e32 vcc_lo, s46, v0
	;; [unrolled: 2-line block ×3, first 2 shown]
	v_cndmask_b32_e64 v17, 0, -1, vcc_lo
	v_cmp_eq_u32_e32 vcc_lo, s47, v9
	s_delay_alu instid0(VALU_DEP_2) | instskip(SKIP_3) | instid1(VALU_DEP_3)
	v_cndmask_b32_e64 v0, v17, v0, s0
	v_cndmask_b32_e32 v9, v15, v14, vcc_lo
	v_add_co_u32 v14, vcc_lo, v3, 1
	v_add_co_ci_u32_e32 v15, vcc_lo, 0, v8, vcc_lo
	v_cmp_ne_u32_e32 vcc_lo, 0, v9
	s_delay_alu instid0(VALU_DEP_2) | instskip(NEXT) | instid1(VALU_DEP_4)
	v_cndmask_b32_e32 v1, v15, v13, vcc_lo
	v_cndmask_b32_e32 v9, v14, v12, vcc_lo
	v_cmp_ne_u32_e32 vcc_lo, 0, v0
	v_xor_b32_e32 v0, s2, v16
	s_delay_alu instid0(VALU_DEP_3) | instskip(SKIP_2) | instid1(VALU_DEP_3)
	v_cndmask_b32_e32 v3, v3, v9, vcc_lo
	v_cndmask_b32_e32 v1, v8, v1, vcc_lo
	v_xor_b32_e32 v8, s3, v16
	v_xor_b32_e32 v3, v3, v0
	s_delay_alu instid0(VALU_DEP_2) | instskip(NEXT) | instid1(VALU_DEP_2)
	v_xor_b32_e32 v1, v1, v8
	v_sub_co_u32 v0, vcc_lo, v3, v0
	s_delay_alu instid0(VALU_DEP_2)
	v_sub_co_ci_u32_e32 v1, vcc_lo, v1, v8, vcc_lo
                                        ; implicit-def: $vgpr8
.LBB24_10:                              ;   in Loop: Header=BB24_3 Depth=1
	s_and_not1_saveexec_b32 s0, s48
	s_cbranch_execz .LBB24_12
; %bb.11:                               ;   in Loop: Header=BB24_3 Depth=1
	v_cvt_f32_u32_e32 v0, s54
	s_sub_i32 s2, 0, s54
	s_delay_alu instid0(VALU_DEP_1) | instskip(SKIP_2) | instid1(VALU_DEP_1)
	v_rcp_iflag_f32_e32 v0, v0
	s_waitcnt_depctr 0xfff
	v_mul_f32_e32 v0, 0x4f7ffffe, v0
	v_cvt_u32_f32_e32 v0, v0
	s_delay_alu instid0(VALU_DEP_1) | instskip(NEXT) | instid1(VALU_DEP_1)
	v_mul_lo_u32 v1, s2, v0
	v_mul_hi_u32 v1, v0, v1
	s_delay_alu instid0(VALU_DEP_1) | instskip(NEXT) | instid1(VALU_DEP_1)
	v_add_nc_u32_e32 v0, v0, v1
	v_mul_hi_u32 v0, v8, v0
	s_delay_alu instid0(VALU_DEP_1) | instskip(SKIP_1) | instid1(VALU_DEP_2)
	v_mul_lo_u32 v1, v0, s54
	v_add_nc_u32_e32 v3, 1, v0
	v_sub_nc_u32_e32 v1, v8, v1
	s_delay_alu instid0(VALU_DEP_1) | instskip(SKIP_1) | instid1(VALU_DEP_2)
	v_subrev_nc_u32_e32 v8, s54, v1
	v_cmp_le_u32_e32 vcc_lo, s54, v1
	v_dual_cndmask_b32 v1, v1, v8 :: v_dual_cndmask_b32 v0, v0, v3
	s_delay_alu instid0(VALU_DEP_1) | instskip(NEXT) | instid1(VALU_DEP_2)
	v_cmp_le_u32_e32 vcc_lo, s54, v1
	v_add_nc_u32_e32 v3, 1, v0
	s_delay_alu instid0(VALU_DEP_1)
	v_dual_mov_b32 v1, v2 :: v_dual_cndmask_b32 v0, v0, v3
.LBB24_12:                              ;   in Loop: Header=BB24_3 Depth=1
	s_or_b32 exec_lo, exec_lo, s0
	s_delay_alu instid0(VALU_DEP_1) | instskip(NEXT) | instid1(VALU_DEP_2)
	v_add_co_u32 v0, vcc_lo, v0, 1
	v_add_co_ci_u32_e32 v1, vcc_lo, 0, v1, vcc_lo
.LBB24_13:                              ;   in Loop: Header=BB24_3 Depth=1
	s_or_b32 exec_lo, exec_lo, s1
	v_or_b32_e32 v3, s53, v11
                                        ; implicit-def: $vgpr8_vgpr9
	s_mov_b32 s0, exec_lo
	s_delay_alu instid0(VALU_DEP_1)
	v_cmpx_ne_u64_e32 0, v[2:3]
	s_xor_b32 s1, exec_lo, s0
	s_cbranch_execz .LBB24_15
; %bb.14:                               ;   in Loop: Header=BB24_3 Depth=1
	s_add_u32 s46, s54, s53
	s_mov_b32 s2, s53
	s_mov_b32 s3, s53
	s_addc_u32 s47, s53, s53
	s_delay_alu instid0(SALU_CYCLE_1) | instskip(NEXT) | instid1(SALU_CYCLE_1)
	s_xor_b64 s[46:47], s[46:47], s[2:3]
	v_cvt_f32_u32_e32 v3, s46
	v_cvt_f32_u32_e32 v8, s47
	s_sub_u32 s0, 0, s46
	s_subb_u32 s48, 0, s47
	s_delay_alu instid0(VALU_DEP_1) | instskip(NEXT) | instid1(VALU_DEP_1)
	v_fmac_f32_e32 v3, 0x4f800000, v8
	v_rcp_f32_e32 v3, v3
	s_waitcnt_depctr 0xfff
	v_mul_f32_e32 v3, 0x5f7ffffc, v3
	s_delay_alu instid0(VALU_DEP_1) | instskip(NEXT) | instid1(VALU_DEP_1)
	v_mul_f32_e32 v8, 0x2f800000, v3
	v_trunc_f32_e32 v8, v8
	s_delay_alu instid0(VALU_DEP_1) | instskip(SKIP_1) | instid1(VALU_DEP_2)
	v_fmac_f32_e32 v3, 0xcf800000, v8
	v_cvt_u32_f32_e32 v8, v8
	v_cvt_u32_f32_e32 v3, v3
	s_delay_alu instid0(VALU_DEP_2) | instskip(NEXT) | instid1(VALU_DEP_2)
	v_mul_lo_u32 v9, s0, v8
	v_mul_hi_u32 v12, s0, v3
	v_mul_lo_u32 v13, s48, v3
	s_delay_alu instid0(VALU_DEP_2) | instskip(SKIP_1) | instid1(VALU_DEP_2)
	v_add_nc_u32_e32 v9, v12, v9
	v_mul_lo_u32 v12, s0, v3
	v_add_nc_u32_e32 v9, v9, v13
	s_delay_alu instid0(VALU_DEP_2) | instskip(NEXT) | instid1(VALU_DEP_2)
	v_mul_hi_u32 v13, v3, v12
	v_mul_lo_u32 v14, v3, v9
	v_mul_hi_u32 v15, v3, v9
	v_mul_hi_u32 v16, v8, v12
	v_mul_lo_u32 v12, v8, v12
	v_mul_hi_u32 v17, v8, v9
	v_mul_lo_u32 v9, v8, v9
	v_add_co_u32 v13, vcc_lo, v13, v14
	v_add_co_ci_u32_e32 v14, vcc_lo, 0, v15, vcc_lo
	s_delay_alu instid0(VALU_DEP_2) | instskip(NEXT) | instid1(VALU_DEP_2)
	v_add_co_u32 v12, vcc_lo, v13, v12
	v_add_co_ci_u32_e32 v12, vcc_lo, v14, v16, vcc_lo
	v_add_co_ci_u32_e32 v13, vcc_lo, 0, v17, vcc_lo
	v_ashrrev_i32_e32 v16, 31, v11
	s_delay_alu instid0(VALU_DEP_3) | instskip(NEXT) | instid1(VALU_DEP_3)
	v_add_co_u32 v9, vcc_lo, v12, v9
	v_add_co_ci_u32_e32 v12, vcc_lo, 0, v13, vcc_lo
	s_delay_alu instid0(VALU_DEP_2) | instskip(NEXT) | instid1(VALU_DEP_2)
	v_add_co_u32 v3, vcc_lo, v3, v9
	v_add_co_ci_u32_e32 v8, vcc_lo, v8, v12, vcc_lo
	s_delay_alu instid0(VALU_DEP_2) | instskip(SKIP_1) | instid1(VALU_DEP_3)
	v_mul_hi_u32 v9, s0, v3
	v_mul_lo_u32 v13, s48, v3
	v_mul_lo_u32 v12, s0, v8
	s_delay_alu instid0(VALU_DEP_1) | instskip(SKIP_1) | instid1(VALU_DEP_2)
	v_add_nc_u32_e32 v9, v9, v12
	v_mul_lo_u32 v12, s0, v3
	v_add_nc_u32_e32 v9, v9, v13
	s_delay_alu instid0(VALU_DEP_2) | instskip(NEXT) | instid1(VALU_DEP_2)
	v_mul_hi_u32 v13, v3, v12
	v_mul_lo_u32 v14, v3, v9
	v_mul_hi_u32 v15, v3, v9
	v_mul_hi_u32 v17, v8, v12
	v_mul_lo_u32 v12, v8, v12
	v_mul_hi_u32 v18, v8, v9
	v_mul_lo_u32 v9, v8, v9
	v_add_co_u32 v13, vcc_lo, v13, v14
	v_add_co_ci_u32_e32 v14, vcc_lo, 0, v15, vcc_lo
	s_delay_alu instid0(VALU_DEP_2) | instskip(NEXT) | instid1(VALU_DEP_2)
	v_add_co_u32 v12, vcc_lo, v13, v12
	v_add_co_ci_u32_e32 v12, vcc_lo, v14, v17, vcc_lo
	v_add_co_ci_u32_e32 v13, vcc_lo, 0, v18, vcc_lo
	v_add_co_u32 v10, vcc_lo, v10, v16
	v_add_co_ci_u32_e32 v11, vcc_lo, v11, v16, vcc_lo
	s_delay_alu instid0(VALU_DEP_4) | instskip(NEXT) | instid1(VALU_DEP_4)
	v_add_co_u32 v9, vcc_lo, v12, v9
	v_add_co_ci_u32_e32 v12, vcc_lo, 0, v13, vcc_lo
	s_delay_alu instid0(VALU_DEP_4) | instskip(NEXT) | instid1(VALU_DEP_3)
	v_xor_b32_e32 v14, v10, v16
	v_add_co_u32 v3, vcc_lo, v3, v9
	s_delay_alu instid0(VALU_DEP_3) | instskip(SKIP_1) | instid1(VALU_DEP_3)
	v_add_co_ci_u32_e32 v15, vcc_lo, v8, v12, vcc_lo
	v_xor_b32_e32 v17, v11, v16
	v_mul_hi_u32 v18, v14, v3
	s_delay_alu instid0(VALU_DEP_3) | instskip(NEXT) | instid1(VALU_DEP_3)
	v_mad_u64_u32 v[8:9], null, v14, v15, 0
	v_mad_u64_u32 v[10:11], null, v17, v3, 0
	;; [unrolled: 1-line block ×3, first 2 shown]
	s_delay_alu instid0(VALU_DEP_3) | instskip(NEXT) | instid1(VALU_DEP_4)
	v_add_co_u32 v3, vcc_lo, v18, v8
	v_add_co_ci_u32_e32 v8, vcc_lo, 0, v9, vcc_lo
	s_delay_alu instid0(VALU_DEP_2) | instskip(NEXT) | instid1(VALU_DEP_2)
	v_add_co_u32 v3, vcc_lo, v3, v10
	v_add_co_ci_u32_e32 v3, vcc_lo, v8, v11, vcc_lo
	v_add_co_ci_u32_e32 v8, vcc_lo, 0, v13, vcc_lo
	s_delay_alu instid0(VALU_DEP_2) | instskip(NEXT) | instid1(VALU_DEP_2)
	v_add_co_u32 v3, vcc_lo, v3, v12
	v_add_co_ci_u32_e32 v10, vcc_lo, 0, v8, vcc_lo
	s_delay_alu instid0(VALU_DEP_2) | instskip(SKIP_1) | instid1(VALU_DEP_3)
	v_mul_lo_u32 v11, s47, v3
	v_mad_u64_u32 v[8:9], null, s46, v3, 0
	v_mul_lo_u32 v12, s46, v10
	s_delay_alu instid0(VALU_DEP_2) | instskip(NEXT) | instid1(VALU_DEP_2)
	v_sub_co_u32 v8, vcc_lo, v14, v8
	v_add3_u32 v9, v9, v12, v11
	s_delay_alu instid0(VALU_DEP_1) | instskip(NEXT) | instid1(VALU_DEP_1)
	v_sub_nc_u32_e32 v11, v17, v9
	v_subrev_co_ci_u32_e64 v11, s0, s47, v11, vcc_lo
	v_add_co_u32 v12, s0, v3, 2
	s_delay_alu instid0(VALU_DEP_1) | instskip(SKIP_3) | instid1(VALU_DEP_3)
	v_add_co_ci_u32_e64 v13, s0, 0, v10, s0
	v_sub_co_u32 v14, s0, v8, s46
	v_sub_co_ci_u32_e32 v9, vcc_lo, v17, v9, vcc_lo
	v_subrev_co_ci_u32_e64 v11, s0, 0, v11, s0
	v_cmp_le_u32_e32 vcc_lo, s46, v14
	s_delay_alu instid0(VALU_DEP_3) | instskip(SKIP_1) | instid1(VALU_DEP_4)
	v_cmp_eq_u32_e64 s0, s47, v9
	v_cndmask_b32_e64 v14, 0, -1, vcc_lo
	v_cmp_le_u32_e32 vcc_lo, s47, v11
	v_cndmask_b32_e64 v15, 0, -1, vcc_lo
	v_cmp_le_u32_e32 vcc_lo, s46, v8
	;; [unrolled: 2-line block ×3, first 2 shown]
	v_cndmask_b32_e64 v17, 0, -1, vcc_lo
	v_cmp_eq_u32_e32 vcc_lo, s47, v11
	s_delay_alu instid0(VALU_DEP_2) | instskip(SKIP_3) | instid1(VALU_DEP_3)
	v_cndmask_b32_e64 v8, v17, v8, s0
	v_cndmask_b32_e32 v11, v15, v14, vcc_lo
	v_add_co_u32 v14, vcc_lo, v3, 1
	v_add_co_ci_u32_e32 v15, vcc_lo, 0, v10, vcc_lo
	v_cmp_ne_u32_e32 vcc_lo, 0, v11
	s_delay_alu instid0(VALU_DEP_2) | instskip(NEXT) | instid1(VALU_DEP_4)
	v_cndmask_b32_e32 v9, v15, v13, vcc_lo
	v_cndmask_b32_e32 v11, v14, v12, vcc_lo
	v_cmp_ne_u32_e32 vcc_lo, 0, v8
	v_xor_b32_e32 v8, s2, v16
	s_delay_alu instid0(VALU_DEP_3) | instskip(SKIP_2) | instid1(VALU_DEP_3)
	v_cndmask_b32_e32 v3, v3, v11, vcc_lo
	v_cndmask_b32_e32 v9, v10, v9, vcc_lo
	v_xor_b32_e32 v10, s3, v16
	v_xor_b32_e32 v3, v3, v8
	s_delay_alu instid0(VALU_DEP_2) | instskip(NEXT) | instid1(VALU_DEP_2)
	v_xor_b32_e32 v9, v9, v10
	v_sub_co_u32 v8, vcc_lo, v3, v8
	s_delay_alu instid0(VALU_DEP_2)
	v_sub_co_ci_u32_e32 v9, vcc_lo, v9, v10, vcc_lo
                                        ; implicit-def: $vgpr10
.LBB24_15:                              ;   in Loop: Header=BB24_3 Depth=1
	s_and_not1_saveexec_b32 s0, s1
	s_cbranch_execz .LBB24_17
; %bb.16:                               ;   in Loop: Header=BB24_3 Depth=1
	v_cvt_f32_u32_e32 v3, s54
	s_sub_i32 s1, 0, s54
	s_delay_alu instid0(VALU_DEP_1) | instskip(SKIP_2) | instid1(VALU_DEP_1)
	v_rcp_iflag_f32_e32 v3, v3
	s_waitcnt_depctr 0xfff
	v_mul_f32_e32 v3, 0x4f7ffffe, v3
	v_cvt_u32_f32_e32 v3, v3
	s_delay_alu instid0(VALU_DEP_1) | instskip(NEXT) | instid1(VALU_DEP_1)
	v_mul_lo_u32 v8, s1, v3
	v_mul_hi_u32 v8, v3, v8
	s_delay_alu instid0(VALU_DEP_1) | instskip(NEXT) | instid1(VALU_DEP_1)
	v_add_nc_u32_e32 v3, v3, v8
	v_mul_hi_u32 v3, v10, v3
	s_delay_alu instid0(VALU_DEP_1) | instskip(SKIP_1) | instid1(VALU_DEP_2)
	v_mul_lo_u32 v8, v3, s54
	v_add_nc_u32_e32 v9, 1, v3
	v_sub_nc_u32_e32 v8, v10, v8
	s_delay_alu instid0(VALU_DEP_1) | instskip(SKIP_1) | instid1(VALU_DEP_2)
	v_subrev_nc_u32_e32 v10, s54, v8
	v_cmp_le_u32_e32 vcc_lo, s54, v8
	v_dual_cndmask_b32 v8, v8, v10 :: v_dual_cndmask_b32 v3, v3, v9
	s_delay_alu instid0(VALU_DEP_1) | instskip(NEXT) | instid1(VALU_DEP_2)
	v_cmp_le_u32_e32 vcc_lo, s54, v8
	v_add_nc_u32_e32 v9, 1, v3
	s_delay_alu instid0(VALU_DEP_1)
	v_dual_cndmask_b32 v8, v3, v9 :: v_dual_mov_b32 v9, v2
.LBB24_17:                              ;   in Loop: Header=BB24_3 Depth=1
	s_or_b32 exec_lo, exec_lo, s0
	v_mul_lo_u32 v3, v7, s26
	v_mul_lo_u32 v7, v6, s27
	v_mad_u64_u32 v[10:11], null, v6, s26, 0
	s_mov_b32 s1, exec_lo
	s_delay_alu instid0(VALU_DEP_1) | instskip(NEXT) | instid1(VALU_DEP_2)
	v_add3_u32 v3, v11, v7, v3
	v_sub_co_u32 v6, vcc_lo, v4, v10
	s_delay_alu instid0(VALU_DEP_2) | instskip(NEXT) | instid1(VALU_DEP_2)
	v_sub_co_ci_u32_e32 v3, vcc_lo, v5, v3, vcc_lo
	v_add_co_u32 v10, vcc_lo, v6, s56
	v_mov_b32_e32 v6, 0
	s_delay_alu instid0(VALU_DEP_3) | instskip(SKIP_1) | instid1(VALU_DEP_2)
	v_add_co_ci_u32_e32 v11, vcc_lo, s55, v3, vcc_lo
	v_mov_b32_e32 v7, 0
	v_cmpx_le_i64_e64 s[6:7], v[10:11]
	s_cbranch_execz .LBB24_23
; %bb.18:                               ;   in Loop: Header=BB24_3 Depth=1
	v_sub_co_u32 v12, vcc_lo, v10, s6
	v_subrev_co_ci_u32_e32 v13, vcc_lo, s7, v11, vcc_lo
                                        ; implicit-def: $vgpr6_vgpr7
	s_mov_b32 s0, exec_lo
	s_delay_alu instid0(VALU_DEP_1) | instskip(NEXT) | instid1(VALU_DEP_1)
	v_or_b32_e32 v3, s57, v13
	v_cmpx_ne_u64_e32 0, v[2:3]
	s_xor_b32 s48, exec_lo, s0
	s_cbranch_execz .LBB24_20
; %bb.19:                               ;   in Loop: Header=BB24_3 Depth=1
	s_add_u32 s46, s58, s57
	s_mov_b32 s2, s57
	s_mov_b32 s3, s57
	s_addc_u32 s47, s57, s57
	s_delay_alu instid0(SALU_CYCLE_1) | instskip(NEXT) | instid1(SALU_CYCLE_1)
	s_xor_b64 s[46:47], s[46:47], s[2:3]
	v_cvt_f32_u32_e32 v3, s46
	v_cvt_f32_u32_e32 v6, s47
	s_sub_u32 s0, 0, s46
	s_subb_u32 s49, 0, s47
	s_delay_alu instid0(VALU_DEP_1) | instskip(NEXT) | instid1(VALU_DEP_1)
	v_fmac_f32_e32 v3, 0x4f800000, v6
	v_rcp_f32_e32 v3, v3
	s_waitcnt_depctr 0xfff
	v_mul_f32_e32 v3, 0x5f7ffffc, v3
	s_delay_alu instid0(VALU_DEP_1) | instskip(NEXT) | instid1(VALU_DEP_1)
	v_mul_f32_e32 v6, 0x2f800000, v3
	v_trunc_f32_e32 v6, v6
	s_delay_alu instid0(VALU_DEP_1) | instskip(SKIP_1) | instid1(VALU_DEP_2)
	v_fmac_f32_e32 v3, 0xcf800000, v6
	v_cvt_u32_f32_e32 v6, v6
	v_cvt_u32_f32_e32 v3, v3
	s_delay_alu instid0(VALU_DEP_2) | instskip(NEXT) | instid1(VALU_DEP_2)
	v_mul_lo_u32 v7, s0, v6
	v_mul_hi_u32 v14, s0, v3
	v_mul_lo_u32 v15, s49, v3
	s_delay_alu instid0(VALU_DEP_2) | instskip(SKIP_1) | instid1(VALU_DEP_2)
	v_add_nc_u32_e32 v7, v14, v7
	v_mul_lo_u32 v14, s0, v3
	v_add_nc_u32_e32 v7, v7, v15
	s_delay_alu instid0(VALU_DEP_2) | instskip(NEXT) | instid1(VALU_DEP_2)
	v_mul_hi_u32 v15, v3, v14
	v_mul_lo_u32 v16, v3, v7
	v_mul_hi_u32 v17, v3, v7
	v_mul_hi_u32 v18, v6, v14
	v_mul_lo_u32 v14, v6, v14
	v_mul_hi_u32 v19, v6, v7
	v_mul_lo_u32 v7, v6, v7
	v_add_co_u32 v15, vcc_lo, v15, v16
	v_add_co_ci_u32_e32 v16, vcc_lo, 0, v17, vcc_lo
	s_delay_alu instid0(VALU_DEP_2) | instskip(NEXT) | instid1(VALU_DEP_2)
	v_add_co_u32 v14, vcc_lo, v15, v14
	v_add_co_ci_u32_e32 v14, vcc_lo, v16, v18, vcc_lo
	v_add_co_ci_u32_e32 v15, vcc_lo, 0, v19, vcc_lo
	v_ashrrev_i32_e32 v18, 31, v13
	s_delay_alu instid0(VALU_DEP_3) | instskip(NEXT) | instid1(VALU_DEP_3)
	v_add_co_u32 v7, vcc_lo, v14, v7
	v_add_co_ci_u32_e32 v14, vcc_lo, 0, v15, vcc_lo
	s_delay_alu instid0(VALU_DEP_2) | instskip(NEXT) | instid1(VALU_DEP_2)
	v_add_co_u32 v3, vcc_lo, v3, v7
	v_add_co_ci_u32_e32 v6, vcc_lo, v6, v14, vcc_lo
	s_delay_alu instid0(VALU_DEP_2) | instskip(SKIP_1) | instid1(VALU_DEP_3)
	v_mul_hi_u32 v7, s0, v3
	v_mul_lo_u32 v15, s49, v3
	v_mul_lo_u32 v14, s0, v6
	s_delay_alu instid0(VALU_DEP_1) | instskip(SKIP_1) | instid1(VALU_DEP_2)
	v_add_nc_u32_e32 v7, v7, v14
	v_mul_lo_u32 v14, s0, v3
	v_add_nc_u32_e32 v7, v7, v15
	s_delay_alu instid0(VALU_DEP_2) | instskip(NEXT) | instid1(VALU_DEP_2)
	v_mul_hi_u32 v15, v3, v14
	v_mul_lo_u32 v16, v3, v7
	v_mul_hi_u32 v17, v3, v7
	v_mul_hi_u32 v19, v6, v14
	v_mul_lo_u32 v14, v6, v14
	v_mul_hi_u32 v20, v6, v7
	v_mul_lo_u32 v7, v6, v7
	v_add_co_u32 v15, vcc_lo, v15, v16
	v_add_co_ci_u32_e32 v16, vcc_lo, 0, v17, vcc_lo
	s_delay_alu instid0(VALU_DEP_2) | instskip(NEXT) | instid1(VALU_DEP_2)
	v_add_co_u32 v14, vcc_lo, v15, v14
	v_add_co_ci_u32_e32 v14, vcc_lo, v16, v19, vcc_lo
	v_add_co_ci_u32_e32 v15, vcc_lo, 0, v20, vcc_lo
	v_add_co_u32 v12, vcc_lo, v12, v18
	v_add_co_ci_u32_e32 v13, vcc_lo, v13, v18, vcc_lo
	s_delay_alu instid0(VALU_DEP_4) | instskip(NEXT) | instid1(VALU_DEP_4)
	v_add_co_u32 v7, vcc_lo, v14, v7
	v_add_co_ci_u32_e32 v14, vcc_lo, 0, v15, vcc_lo
	s_delay_alu instid0(VALU_DEP_4) | instskip(NEXT) | instid1(VALU_DEP_3)
	v_xor_b32_e32 v16, v12, v18
	v_add_co_u32 v3, vcc_lo, v3, v7
	s_delay_alu instid0(VALU_DEP_3) | instskip(SKIP_1) | instid1(VALU_DEP_3)
	v_add_co_ci_u32_e32 v17, vcc_lo, v6, v14, vcc_lo
	v_xor_b32_e32 v19, v13, v18
	v_mul_hi_u32 v20, v16, v3
	s_delay_alu instid0(VALU_DEP_3) | instskip(NEXT) | instid1(VALU_DEP_3)
	v_mad_u64_u32 v[6:7], null, v16, v17, 0
	v_mad_u64_u32 v[12:13], null, v19, v3, 0
	;; [unrolled: 1-line block ×3, first 2 shown]
	s_delay_alu instid0(VALU_DEP_3) | instskip(NEXT) | instid1(VALU_DEP_4)
	v_add_co_u32 v3, vcc_lo, v20, v6
	v_add_co_ci_u32_e32 v6, vcc_lo, 0, v7, vcc_lo
	s_delay_alu instid0(VALU_DEP_2) | instskip(NEXT) | instid1(VALU_DEP_2)
	v_add_co_u32 v3, vcc_lo, v3, v12
	v_add_co_ci_u32_e32 v3, vcc_lo, v6, v13, vcc_lo
	v_add_co_ci_u32_e32 v6, vcc_lo, 0, v15, vcc_lo
	s_delay_alu instid0(VALU_DEP_2) | instskip(NEXT) | instid1(VALU_DEP_2)
	v_add_co_u32 v3, vcc_lo, v3, v14
	v_add_co_ci_u32_e32 v12, vcc_lo, 0, v6, vcc_lo
	s_delay_alu instid0(VALU_DEP_2) | instskip(SKIP_1) | instid1(VALU_DEP_3)
	v_mul_lo_u32 v13, s47, v3
	v_mad_u64_u32 v[6:7], null, s46, v3, 0
	v_mul_lo_u32 v14, s46, v12
	s_delay_alu instid0(VALU_DEP_2) | instskip(NEXT) | instid1(VALU_DEP_2)
	v_sub_co_u32 v6, vcc_lo, v16, v6
	v_add3_u32 v7, v7, v14, v13
	s_delay_alu instid0(VALU_DEP_1) | instskip(NEXT) | instid1(VALU_DEP_1)
	v_sub_nc_u32_e32 v13, v19, v7
	v_subrev_co_ci_u32_e64 v13, s0, s47, v13, vcc_lo
	v_add_co_u32 v14, s0, v3, 2
	s_delay_alu instid0(VALU_DEP_1) | instskip(SKIP_3) | instid1(VALU_DEP_3)
	v_add_co_ci_u32_e64 v15, s0, 0, v12, s0
	v_sub_co_u32 v16, s0, v6, s46
	v_sub_co_ci_u32_e32 v7, vcc_lo, v19, v7, vcc_lo
	v_subrev_co_ci_u32_e64 v13, s0, 0, v13, s0
	v_cmp_le_u32_e32 vcc_lo, s46, v16
	s_delay_alu instid0(VALU_DEP_3) | instskip(SKIP_1) | instid1(VALU_DEP_4)
	v_cmp_eq_u32_e64 s0, s47, v7
	v_cndmask_b32_e64 v16, 0, -1, vcc_lo
	v_cmp_le_u32_e32 vcc_lo, s47, v13
	v_cndmask_b32_e64 v17, 0, -1, vcc_lo
	v_cmp_le_u32_e32 vcc_lo, s46, v6
	;; [unrolled: 2-line block ×3, first 2 shown]
	v_cndmask_b32_e64 v19, 0, -1, vcc_lo
	v_cmp_eq_u32_e32 vcc_lo, s47, v13
	s_delay_alu instid0(VALU_DEP_2) | instskip(SKIP_3) | instid1(VALU_DEP_3)
	v_cndmask_b32_e64 v6, v19, v6, s0
	v_cndmask_b32_e32 v13, v17, v16, vcc_lo
	v_add_co_u32 v16, vcc_lo, v3, 1
	v_add_co_ci_u32_e32 v17, vcc_lo, 0, v12, vcc_lo
	v_cmp_ne_u32_e32 vcc_lo, 0, v13
	s_delay_alu instid0(VALU_DEP_2) | instskip(NEXT) | instid1(VALU_DEP_4)
	v_cndmask_b32_e32 v7, v17, v15, vcc_lo
	v_cndmask_b32_e32 v13, v16, v14, vcc_lo
	v_cmp_ne_u32_e32 vcc_lo, 0, v6
	v_xor_b32_e32 v6, s2, v18
	s_delay_alu instid0(VALU_DEP_3) | instskip(SKIP_2) | instid1(VALU_DEP_3)
	v_cndmask_b32_e32 v3, v3, v13, vcc_lo
	v_cndmask_b32_e32 v7, v12, v7, vcc_lo
	v_xor_b32_e32 v12, s3, v18
	v_xor_b32_e32 v3, v3, v6
	s_delay_alu instid0(VALU_DEP_2) | instskip(NEXT) | instid1(VALU_DEP_2)
	v_xor_b32_e32 v7, v7, v12
	v_sub_co_u32 v6, vcc_lo, v3, v6
	s_delay_alu instid0(VALU_DEP_2)
	v_sub_co_ci_u32_e32 v7, vcc_lo, v7, v12, vcc_lo
                                        ; implicit-def: $vgpr12
.LBB24_20:                              ;   in Loop: Header=BB24_3 Depth=1
	s_and_not1_saveexec_b32 s0, s48
	s_cbranch_execz .LBB24_22
; %bb.21:                               ;   in Loop: Header=BB24_3 Depth=1
	v_cvt_f32_u32_e32 v3, s58
	s_sub_i32 s2, 0, s58
	s_delay_alu instid0(VALU_DEP_1) | instskip(SKIP_2) | instid1(VALU_DEP_1)
	v_rcp_iflag_f32_e32 v3, v3
	s_waitcnt_depctr 0xfff
	v_mul_f32_e32 v3, 0x4f7ffffe, v3
	v_cvt_u32_f32_e32 v3, v3
	s_delay_alu instid0(VALU_DEP_1) | instskip(NEXT) | instid1(VALU_DEP_1)
	v_mul_lo_u32 v6, s2, v3
	v_mul_hi_u32 v6, v3, v6
	s_delay_alu instid0(VALU_DEP_1) | instskip(NEXT) | instid1(VALU_DEP_1)
	v_add_nc_u32_e32 v3, v3, v6
	v_mul_hi_u32 v3, v12, v3
	s_delay_alu instid0(VALU_DEP_1) | instskip(SKIP_1) | instid1(VALU_DEP_2)
	v_mul_lo_u32 v6, v3, s58
	v_add_nc_u32_e32 v7, 1, v3
	v_sub_nc_u32_e32 v6, v12, v6
	s_delay_alu instid0(VALU_DEP_1) | instskip(SKIP_1) | instid1(VALU_DEP_2)
	v_subrev_nc_u32_e32 v12, s58, v6
	v_cmp_le_u32_e32 vcc_lo, s58, v6
	v_dual_cndmask_b32 v6, v6, v12 :: v_dual_cndmask_b32 v3, v3, v7
	s_delay_alu instid0(VALU_DEP_1) | instskip(NEXT) | instid1(VALU_DEP_2)
	v_cmp_le_u32_e32 vcc_lo, s58, v6
	v_add_nc_u32_e32 v7, 1, v3
	s_delay_alu instid0(VALU_DEP_1)
	v_dual_cndmask_b32 v6, v3, v7 :: v_dual_mov_b32 v7, v2
.LBB24_22:                              ;   in Loop: Header=BB24_3 Depth=1
	s_or_b32 exec_lo, exec_lo, s0
	s_delay_alu instid0(VALU_DEP_1) | instskip(NEXT) | instid1(VALU_DEP_2)
	v_add_co_u32 v6, vcc_lo, v6, 1
	v_add_co_ci_u32_e32 v7, vcc_lo, 0, v7, vcc_lo
.LBB24_23:                              ;   in Loop: Header=BB24_3 Depth=1
	s_or_b32 exec_lo, exec_lo, s1
	v_or_b32_e32 v3, s57, v11
                                        ; implicit-def: $vgpr12_vgpr13
	s_mov_b32 s0, exec_lo
	s_delay_alu instid0(VALU_DEP_1)
	v_cmpx_ne_u64_e32 0, v[2:3]
	s_xor_b32 s1, exec_lo, s0
	s_cbranch_execnz .LBB24_26
; %bb.24:                               ;   in Loop: Header=BB24_3 Depth=1
	s_and_not1_saveexec_b32 s0, s1
	s_cbranch_execnz .LBB24_27
.LBB24_25:                              ;   in Loop: Header=BB24_3 Depth=1
	s_or_b32 exec_lo, exec_lo, s0
	s_delay_alu instid0(SALU_CYCLE_1)
	s_and_not1_b32 vcc_lo, exec_lo, s33
	s_cbranch_vccnz .LBB24_2
	s_branch .LBB24_28
.LBB24_26:                              ;   in Loop: Header=BB24_3 Depth=1
	s_add_u32 s46, s58, s57
	s_mov_b32 s2, s57
	s_mov_b32 s3, s57
	s_addc_u32 s47, s57, s57
	s_delay_alu instid0(SALU_CYCLE_1) | instskip(NEXT) | instid1(SALU_CYCLE_1)
	s_xor_b64 s[46:47], s[46:47], s[2:3]
	v_cvt_f32_u32_e32 v3, s46
	v_cvt_f32_u32_e32 v12, s47
	s_sub_u32 s0, 0, s46
	s_subb_u32 s48, 0, s47
	s_delay_alu instid0(VALU_DEP_1) | instskip(NEXT) | instid1(VALU_DEP_1)
	v_fmac_f32_e32 v3, 0x4f800000, v12
	v_rcp_f32_e32 v3, v3
	s_waitcnt_depctr 0xfff
	v_mul_f32_e32 v3, 0x5f7ffffc, v3
	s_delay_alu instid0(VALU_DEP_1) | instskip(NEXT) | instid1(VALU_DEP_1)
	v_mul_f32_e32 v12, 0x2f800000, v3
	v_trunc_f32_e32 v12, v12
	s_delay_alu instid0(VALU_DEP_1) | instskip(SKIP_1) | instid1(VALU_DEP_2)
	v_fmac_f32_e32 v3, 0xcf800000, v12
	v_cvt_u32_f32_e32 v12, v12
	v_cvt_u32_f32_e32 v3, v3
	s_delay_alu instid0(VALU_DEP_2) | instskip(NEXT) | instid1(VALU_DEP_2)
	v_mul_lo_u32 v13, s0, v12
	v_mul_hi_u32 v14, s0, v3
	v_mul_lo_u32 v15, s48, v3
	s_delay_alu instid0(VALU_DEP_2) | instskip(SKIP_1) | instid1(VALU_DEP_2)
	v_add_nc_u32_e32 v13, v14, v13
	v_mul_lo_u32 v14, s0, v3
	v_add_nc_u32_e32 v13, v13, v15
	s_delay_alu instid0(VALU_DEP_2) | instskip(NEXT) | instid1(VALU_DEP_2)
	v_mul_hi_u32 v15, v3, v14
	v_mul_lo_u32 v16, v3, v13
	v_mul_hi_u32 v17, v3, v13
	v_mul_hi_u32 v18, v12, v14
	v_mul_lo_u32 v14, v12, v14
	v_mul_hi_u32 v19, v12, v13
	v_mul_lo_u32 v13, v12, v13
	v_add_co_u32 v15, vcc_lo, v15, v16
	v_add_co_ci_u32_e32 v16, vcc_lo, 0, v17, vcc_lo
	s_delay_alu instid0(VALU_DEP_2) | instskip(NEXT) | instid1(VALU_DEP_2)
	v_add_co_u32 v14, vcc_lo, v15, v14
	v_add_co_ci_u32_e32 v14, vcc_lo, v16, v18, vcc_lo
	v_add_co_ci_u32_e32 v15, vcc_lo, 0, v19, vcc_lo
	v_ashrrev_i32_e32 v18, 31, v11
	s_delay_alu instid0(VALU_DEP_3) | instskip(NEXT) | instid1(VALU_DEP_3)
	v_add_co_u32 v13, vcc_lo, v14, v13
	v_add_co_ci_u32_e32 v14, vcc_lo, 0, v15, vcc_lo
	s_delay_alu instid0(VALU_DEP_2) | instskip(NEXT) | instid1(VALU_DEP_2)
	v_add_co_u32 v3, vcc_lo, v3, v13
	v_add_co_ci_u32_e32 v12, vcc_lo, v12, v14, vcc_lo
	s_delay_alu instid0(VALU_DEP_2) | instskip(SKIP_1) | instid1(VALU_DEP_3)
	v_mul_hi_u32 v13, s0, v3
	v_mul_lo_u32 v15, s48, v3
	v_mul_lo_u32 v14, s0, v12
	s_delay_alu instid0(VALU_DEP_1) | instskip(SKIP_1) | instid1(VALU_DEP_2)
	v_add_nc_u32_e32 v13, v13, v14
	v_mul_lo_u32 v14, s0, v3
	v_add_nc_u32_e32 v13, v13, v15
	s_delay_alu instid0(VALU_DEP_2) | instskip(NEXT) | instid1(VALU_DEP_2)
	v_mul_hi_u32 v15, v3, v14
	v_mul_lo_u32 v16, v3, v13
	v_mul_hi_u32 v17, v3, v13
	v_mul_hi_u32 v19, v12, v14
	v_mul_lo_u32 v14, v12, v14
	v_mul_hi_u32 v20, v12, v13
	v_mul_lo_u32 v13, v12, v13
	v_add_co_u32 v15, vcc_lo, v15, v16
	v_add_co_ci_u32_e32 v16, vcc_lo, 0, v17, vcc_lo
	s_delay_alu instid0(VALU_DEP_2) | instskip(NEXT) | instid1(VALU_DEP_2)
	v_add_co_u32 v14, vcc_lo, v15, v14
	v_add_co_ci_u32_e32 v14, vcc_lo, v16, v19, vcc_lo
	v_add_co_ci_u32_e32 v15, vcc_lo, 0, v20, vcc_lo
	v_add_co_u32 v10, vcc_lo, v10, v18
	v_add_co_ci_u32_e32 v11, vcc_lo, v11, v18, vcc_lo
	s_delay_alu instid0(VALU_DEP_4) | instskip(NEXT) | instid1(VALU_DEP_4)
	v_add_co_u32 v13, vcc_lo, v14, v13
	v_add_co_ci_u32_e32 v14, vcc_lo, 0, v15, vcc_lo
	s_delay_alu instid0(VALU_DEP_4) | instskip(NEXT) | instid1(VALU_DEP_3)
	v_xor_b32_e32 v16, v10, v18
	v_add_co_u32 v3, vcc_lo, v3, v13
	s_delay_alu instid0(VALU_DEP_3) | instskip(SKIP_1) | instid1(VALU_DEP_3)
	v_add_co_ci_u32_e32 v17, vcc_lo, v12, v14, vcc_lo
	v_xor_b32_e32 v19, v11, v18
	v_mul_hi_u32 v20, v16, v3
	s_delay_alu instid0(VALU_DEP_3) | instskip(NEXT) | instid1(VALU_DEP_3)
	v_mad_u64_u32 v[10:11], null, v16, v17, 0
	v_mad_u64_u32 v[12:13], null, v19, v3, 0
	;; [unrolled: 1-line block ×3, first 2 shown]
	s_delay_alu instid0(VALU_DEP_3) | instskip(NEXT) | instid1(VALU_DEP_4)
	v_add_co_u32 v3, vcc_lo, v20, v10
	v_add_co_ci_u32_e32 v10, vcc_lo, 0, v11, vcc_lo
	s_delay_alu instid0(VALU_DEP_2) | instskip(NEXT) | instid1(VALU_DEP_2)
	v_add_co_u32 v3, vcc_lo, v3, v12
	v_add_co_ci_u32_e32 v3, vcc_lo, v10, v13, vcc_lo
	v_add_co_ci_u32_e32 v10, vcc_lo, 0, v15, vcc_lo
	s_delay_alu instid0(VALU_DEP_2) | instskip(NEXT) | instid1(VALU_DEP_2)
	v_add_co_u32 v3, vcc_lo, v3, v14
	v_add_co_ci_u32_e32 v12, vcc_lo, 0, v10, vcc_lo
	s_delay_alu instid0(VALU_DEP_2) | instskip(SKIP_1) | instid1(VALU_DEP_3)
	v_mul_lo_u32 v13, s47, v3
	v_mad_u64_u32 v[10:11], null, s46, v3, 0
	v_mul_lo_u32 v14, s46, v12
	s_delay_alu instid0(VALU_DEP_2) | instskip(NEXT) | instid1(VALU_DEP_2)
	v_sub_co_u32 v10, vcc_lo, v16, v10
	v_add3_u32 v11, v11, v14, v13
	s_delay_alu instid0(VALU_DEP_1) | instskip(NEXT) | instid1(VALU_DEP_1)
	v_sub_nc_u32_e32 v13, v19, v11
	v_subrev_co_ci_u32_e64 v13, s0, s47, v13, vcc_lo
	v_add_co_u32 v14, s0, v3, 2
	s_delay_alu instid0(VALU_DEP_1) | instskip(SKIP_3) | instid1(VALU_DEP_3)
	v_add_co_ci_u32_e64 v15, s0, 0, v12, s0
	v_sub_co_u32 v16, s0, v10, s46
	v_sub_co_ci_u32_e32 v11, vcc_lo, v19, v11, vcc_lo
	v_subrev_co_ci_u32_e64 v13, s0, 0, v13, s0
	v_cmp_le_u32_e32 vcc_lo, s46, v16
	s_delay_alu instid0(VALU_DEP_3) | instskip(SKIP_1) | instid1(VALU_DEP_4)
	v_cmp_eq_u32_e64 s0, s47, v11
	v_cndmask_b32_e64 v16, 0, -1, vcc_lo
	v_cmp_le_u32_e32 vcc_lo, s47, v13
	v_cndmask_b32_e64 v17, 0, -1, vcc_lo
	v_cmp_le_u32_e32 vcc_lo, s46, v10
	;; [unrolled: 2-line block ×3, first 2 shown]
	v_cndmask_b32_e64 v19, 0, -1, vcc_lo
	v_cmp_eq_u32_e32 vcc_lo, s47, v13
	s_delay_alu instid0(VALU_DEP_2) | instskip(SKIP_3) | instid1(VALU_DEP_3)
	v_cndmask_b32_e64 v10, v19, v10, s0
	v_cndmask_b32_e32 v13, v17, v16, vcc_lo
	v_add_co_u32 v16, vcc_lo, v3, 1
	v_add_co_ci_u32_e32 v17, vcc_lo, 0, v12, vcc_lo
	v_cmp_ne_u32_e32 vcc_lo, 0, v13
	s_delay_alu instid0(VALU_DEP_2) | instskip(NEXT) | instid1(VALU_DEP_4)
	v_cndmask_b32_e32 v11, v17, v15, vcc_lo
	v_cndmask_b32_e32 v13, v16, v14, vcc_lo
	v_cmp_ne_u32_e32 vcc_lo, 0, v10
	v_xor_b32_e32 v10, s2, v18
	s_delay_alu instid0(VALU_DEP_3) | instskip(SKIP_2) | instid1(VALU_DEP_3)
	v_cndmask_b32_e32 v3, v3, v13, vcc_lo
	v_cndmask_b32_e32 v11, v12, v11, vcc_lo
	v_xor_b32_e32 v13, s3, v18
	v_xor_b32_e32 v3, v3, v10
	s_delay_alu instid0(VALU_DEP_2) | instskip(NEXT) | instid1(VALU_DEP_2)
	v_xor_b32_e32 v11, v11, v13
	v_sub_co_u32 v12, vcc_lo, v3, v10
	s_delay_alu instid0(VALU_DEP_2)
	v_sub_co_ci_u32_e32 v13, vcc_lo, v11, v13, vcc_lo
                                        ; implicit-def: $vgpr10
	s_and_not1_saveexec_b32 s0, s1
	s_cbranch_execz .LBB24_25
.LBB24_27:                              ;   in Loop: Header=BB24_3 Depth=1
	v_cvt_f32_u32_e32 v3, s58
	s_sub_i32 s1, 0, s58
	v_mov_b32_e32 v13, v2
	s_delay_alu instid0(VALU_DEP_2) | instskip(SKIP_2) | instid1(VALU_DEP_1)
	v_rcp_iflag_f32_e32 v3, v3
	s_waitcnt_depctr 0xfff
	v_mul_f32_e32 v3, 0x4f7ffffe, v3
	v_cvt_u32_f32_e32 v3, v3
	s_delay_alu instid0(VALU_DEP_1) | instskip(NEXT) | instid1(VALU_DEP_1)
	v_mul_lo_u32 v11, s1, v3
	v_mul_hi_u32 v11, v3, v11
	s_delay_alu instid0(VALU_DEP_1) | instskip(NEXT) | instid1(VALU_DEP_1)
	v_add_nc_u32_e32 v3, v3, v11
	v_mul_hi_u32 v3, v10, v3
	s_delay_alu instid0(VALU_DEP_1) | instskip(NEXT) | instid1(VALU_DEP_1)
	v_mul_lo_u32 v11, v3, s58
	v_sub_nc_u32_e32 v10, v10, v11
	v_add_nc_u32_e32 v11, 1, v3
	s_delay_alu instid0(VALU_DEP_2) | instskip(SKIP_1) | instid1(VALU_DEP_2)
	v_subrev_nc_u32_e32 v12, s58, v10
	v_cmp_le_u32_e32 vcc_lo, s58, v10
	v_dual_cndmask_b32 v10, v10, v12 :: v_dual_cndmask_b32 v3, v3, v11
	s_delay_alu instid0(VALU_DEP_1) | instskip(NEXT) | instid1(VALU_DEP_2)
	v_cmp_le_u32_e32 vcc_lo, s58, v10
	v_add_nc_u32_e32 v11, 1, v3
	s_delay_alu instid0(VALU_DEP_1) | instskip(SKIP_1) | instid1(SALU_CYCLE_1)
	v_cndmask_b32_e32 v12, v3, v11, vcc_lo
	s_or_b32 exec_lo, exec_lo, s0
	s_and_not1_b32 vcc_lo, exec_lo, s33
	s_cbranch_vccnz .LBB24_2
.LBB24_28:                              ;   in Loop: Header=BB24_3 Depth=1
	v_add_co_u32 v3, vcc_lo, s61, v0
	v_add_co_ci_u32_e32 v14, vcc_lo, s60, v1, vcc_lo
	v_add_co_u32 v10, vcc_lo, v12, 1
	v_add_co_ci_u32_e32 v11, vcc_lo, 0, v13, vcc_lo
	s_delay_alu instid0(VALU_DEP_3)
	v_mul_lo_u32 v16, s30, v14
	v_mul_lo_u32 v17, s31, v3
	v_mad_u64_u32 v[14:15], null, s30, v3, v[6:7]
	v_add_co_u32 v12, vcc_lo, v8, 1
	v_add_co_ci_u32_e32 v13, vcc_lo, 0, v9, vcc_lo
	s_load_b32 s3, s[34:35], 0x4
	v_cmp_gt_i64_e32 vcc_lo, s[30:31], v[10:11]
	s_delay_alu instid0(VALU_DEP_4) | instskip(NEXT) | instid1(VALU_DEP_3)
	v_add3_u32 v15, v17, v15, v16
	v_cmp_gt_i64_e64 s0, s[28:29], v[12:13]
	v_lshlrev_b64 v[16:17], 1, v[4:5]
	v_cndmask_b32_e32 v9, s31, v11, vcc_lo
	v_cndmask_b32_e32 v8, s30, v10, vcc_lo
	s_delay_alu instid0(VALU_DEP_4)
	v_cndmask_b32_e64 v11, s29, v13, s0
	v_cndmask_b32_e64 v10, s28, v12, s0
	v_lshlrev_b64 v[12:13], 3, v[14:15]
	v_add_co_u32 v3, vcc_lo, s36, v16
	v_lshlrev_b64 v[14:15], 1, v[14:15]
	v_add_co_ci_u32_e32 v33, vcc_lo, s37, v17, vcc_lo
	s_delay_alu instid0(VALU_DEP_4) | instskip(SKIP_1) | instid1(VALU_DEP_4)
	v_add_co_u32 v12, vcc_lo, s18, v12
	v_add_co_ci_u32_e32 v13, vcc_lo, s19, v13, vcc_lo
	v_add_co_u32 v14, vcc_lo, s16, v14
	v_cmp_lt_i64_e64 s0, v[0:1], v[10:11]
	v_cmp_lt_i64_e64 s1, v[6:7], v[8:9]
	s_waitcnt lgkmcnt(0)
	s_mul_i32 s2, s9, s3
	s_mul_hi_u32 s46, s8, s3
	v_add_co_ci_u32_e32 v15, vcc_lo, s17, v15, vcc_lo
	s_add_i32 s63, s46, s2
	s_mul_i32 s2, s41, s3
	s_mul_hi_u32 s46, s40, s3
	s_mul_i32 s64, s8, s3
	s_add_i32 s65, s46, s2
	s_mul_i32 s66, s40, s3
	s_mov_b64 s[46:47], s[14:15]
	s_branch .LBB24_30
.LBB24_29:                              ;   in Loop: Header=BB24_30 Depth=2
	s_add_u32 s46, s46, s3
	s_addc_u32 s47, s47, 0
	v_add_co_u32 v12, vcc_lo, v12, s64
	v_cmp_ge_i64_e64 s2, s[46:47], s[20:21]
	v_add_co_ci_u32_e32 v13, vcc_lo, s63, v13, vcc_lo
	v_add_co_u32 v14, vcc_lo, v14, s66
	v_add_co_ci_u32_e32 v15, vcc_lo, s65, v15, vcc_lo
	s_delay_alu instid0(VALU_DEP_4)
	s_and_b32 vcc_lo, exec_lo, s2
	s_cbranch_vccnz .LBB24_2
.LBB24_30:                              ;   Parent Loop BB24_3 Depth=1
                                        ; =>  This Loop Header: Depth=2
                                        ;       Child Loop BB24_34 Depth 3
                                        ;         Child Loop BB24_38 Depth 4
                                        ;           Child Loop BB24_41 Depth 5
	s_and_not1_b32 vcc_lo, exec_lo, s50
	s_cbranch_vccnz .LBB24_29
; %bb.31:                               ;   in Loop: Header=BB24_30 Depth=2
	s_load_b32 s67, s[34:35], 0x8
	s_mul_i32 s2, s46, s23
	s_mul_hi_u32 s48, s46, s22
	s_mul_i32 s49, s47, s22
	s_add_i32 s2, s48, s2
	v_dual_mov_b32 v17, v15 :: v_dual_mov_b32 v16, v14
	v_dual_mov_b32 v19, v13 :: v_dual_mov_b32 v18, v12
	s_add_i32 s69, s2, s49
	s_mul_i32 s68, s46, s22
	s_waitcnt lgkmcnt(0)
	s_mul_i32 s2, s11, s67
	s_mul_hi_u32 s48, s10, s67
	s_mul_i32 s49, s43, s67
	s_mul_hi_u32 s73, s42, s67
	s_mul_i32 s70, s10, s67
	s_mul_i32 s71, s42, s67
	s_add_i32 s72, s48, s2
	s_add_i32 s73, s73, s49
	s_mov_b64 s[48:49], s[12:13]
	s_branch .LBB24_34
.LBB24_32:                              ;   in Loop: Header=BB24_34 Depth=3
	s_or_b32 exec_lo, exec_lo, s75
.LBB24_33:                              ;   in Loop: Header=BB24_34 Depth=3
	s_delay_alu instid0(SALU_CYCLE_1)
	s_or_b32 exec_lo, exec_lo, s74
	s_add_u32 s2, s48, s68
	s_addc_u32 s74, s49, s69
	s_mul_hi_u32 s75, s24, s2
	s_mul_i32 s74, s24, s74
	s_mul_i32 s76, s25, s2
	s_add_i32 s75, s75, s74
	s_mul_i32 s74, s24, s2
	s_add_i32 s75, s75, s76
	v_cvt_f16_f32_e32 v22, v34
	s_lshl_b64 s[74:75], s[74:75], 1
	s_add_u32 s48, s48, s67
	v_add_co_u32 v20, vcc_lo, v3, s74
	v_add_co_ci_u32_e32 v21, vcc_lo, s75, v33, vcc_lo
	s_addc_u32 s49, s49, 0
	v_add_co_u32 v18, vcc_lo, v18, s70
	v_cmp_ge_i64_e64 s2, s[48:49], s[22:23]
	v_add_co_ci_u32_e32 v19, vcc_lo, s72, v19, vcc_lo
	v_add_co_u32 v16, vcc_lo, v16, s71
	v_add_co_ci_u32_e32 v17, vcc_lo, s73, v17, vcc_lo
	s_delay_alu instid0(VALU_DEP_4)
	s_and_b32 vcc_lo, exec_lo, s2
	global_store_b16 v[20:21], v22, off
	s_cbranch_vccnz .LBB24_29
.LBB24_34:                              ;   Parent Loop BB24_3 Depth=1
                                        ;     Parent Loop BB24_30 Depth=2
                                        ; =>    This Loop Header: Depth=3
                                        ;         Child Loop BB24_38 Depth 4
                                        ;           Child Loop BB24_41 Depth 5
	v_mov_b32_e32 v34, 0
	s_and_saveexec_b32 s74, s0
	s_cbranch_execz .LBB24_33
; %bb.35:                               ;   in Loop: Header=BB24_34 Depth=3
	v_dual_mov_b32 v34, 0 :: v_dual_mov_b32 v21, v17
	v_dual_mov_b32 v20, v16 :: v_dual_mov_b32 v23, v19
	;; [unrolled: 1-line block ×3, first 2 shown]
	v_mov_b32_e32 v24, v0
	s_mov_b32 s75, 0
	s_branch .LBB24_38
.LBB24_36:                              ;   in Loop: Header=BB24_38 Depth=4
	s_set_inst_prefetch_distance 0x2
	s_or_b32 exec_lo, exec_lo, s77
.LBB24_37:                              ;   in Loop: Header=BB24_38 Depth=4
	s_delay_alu instid0(SALU_CYCLE_1) | instskip(SKIP_4) | instid1(VALU_DEP_3)
	s_or_b32 exec_lo, exec_lo, s76
	v_add_co_u32 v24, vcc_lo, v24, 1
	v_add_co_ci_u32_e32 v25, vcc_lo, 0, v25, vcc_lo
	v_add_co_u32 v22, vcc_lo, v22, s38
	v_add_co_ci_u32_e32 v23, vcc_lo, s39, v23, vcc_lo
	v_cmp_ge_i64_e32 vcc_lo, v[24:25], v[10:11]
	v_add_co_u32 v20, s2, v20, s44
	s_delay_alu instid0(VALU_DEP_1) | instskip(SKIP_1) | instid1(SALU_CYCLE_1)
	v_add_co_ci_u32_e64 v21, s2, s45, v21, s2
	s_or_b32 s75, vcc_lo, s75
	s_and_not1_b32 exec_lo, exec_lo, s75
	s_cbranch_execz .LBB24_32
.LBB24_38:                              ;   Parent Loop BB24_3 Depth=1
                                        ;     Parent Loop BB24_30 Depth=2
                                        ;       Parent Loop BB24_34 Depth=3
                                        ; =>      This Loop Header: Depth=4
                                        ;           Child Loop BB24_41 Depth 5
	s_and_saveexec_b32 s76, s1
	s_cbranch_execz .LBB24_37
; %bb.39:                               ;   in Loop: Header=BB24_38 Depth=4
	v_dual_mov_b32 v27, v21 :: v_dual_mov_b32 v26, v20
	v_dual_mov_b32 v29, v23 :: v_dual_mov_b32 v28, v22
	;; [unrolled: 1-line block ×3, first 2 shown]
	s_mov_b32 s77, 0
	s_set_inst_prefetch_distance 0x1
	s_branch .LBB24_41
	.p2align	6
.LBB24_40:                              ;   in Loop: Header=BB24_41 Depth=5
	s_or_b32 exec_lo, exec_lo, s2
	v_add_co_u32 v30, vcc_lo, v30, 1
	v_add_co_ci_u32_e32 v31, vcc_lo, 0, v31, vcc_lo
	v_add_co_u32 v28, vcc_lo, v28, 8
	v_add_co_ci_u32_e32 v29, vcc_lo, 0, v29, vcc_lo
	s_delay_alu instid0(VALU_DEP_3) | instskip(SKIP_1) | instid1(VALU_DEP_1)
	v_cmp_ge_i64_e32 vcc_lo, v[30:31], v[8:9]
	v_add_co_u32 v26, s2, v26, 2
	v_add_co_ci_u32_e64 v27, s2, 0, v27, s2
	s_or_b32 s77, vcc_lo, s77
	s_delay_alu instid0(SALU_CYCLE_1)
	s_and_not1_b32 exec_lo, exec_lo, s77
	s_cbranch_execz .LBB24_36
.LBB24_41:                              ;   Parent Loop BB24_3 Depth=1
                                        ;     Parent Loop BB24_30 Depth=2
                                        ;       Parent Loop BB24_34 Depth=3
                                        ;         Parent Loop BB24_38 Depth=4
                                        ; =>        This Inner Loop Header: Depth=5
	global_load_b64 v[35:36], v[28:29], off
	s_mov_b32 s2, exec_lo
	s_waitcnt vmcnt(0)
	v_cmpx_eq_u64_e64 v[35:36], v[4:5]
	s_cbranch_execz .LBB24_40
; %bb.42:                               ;   in Loop: Header=BB24_41 Depth=5
	global_load_u16 v35, v[26:27], off
	s_waitcnt vmcnt(0)
	v_cvt_f32_f16_e32 v35, v35
	s_delay_alu instid0(VALU_DEP_1)
	v_add_f32_e32 v34, v34, v35
	s_branch .LBB24_40
.LBB24_43:
	s_nop 0
	s_sendmsg sendmsg(MSG_DEALLOC_VGPRS)
	s_endpgm
	.section	.rodata,"a",@progbits
	.p2align	6, 0x0
	.amdhsa_kernel _ZN2at6native12_GLOBAL__N_122max_pool_backward_nchwIN3c104HalfEflEEvPKT_PKlT1_SA_SA_SA_SA_SA_iiiiiiiiPS5_
		.amdhsa_group_segment_fixed_size 0
		.amdhsa_private_segment_fixed_size 0
		.amdhsa_kernarg_size 360
		.amdhsa_user_sgpr_count 13
		.amdhsa_user_sgpr_dispatch_ptr 0
		.amdhsa_user_sgpr_queue_ptr 0
		.amdhsa_user_sgpr_kernarg_segment_ptr 1
		.amdhsa_user_sgpr_dispatch_id 0
		.amdhsa_user_sgpr_private_segment_size 0
		.amdhsa_wavefront_size32 1
		.amdhsa_uses_dynamic_stack 0
		.amdhsa_enable_private_segment 0
		.amdhsa_system_sgpr_workgroup_id_x 1
		.amdhsa_system_sgpr_workgroup_id_y 1
		.amdhsa_system_sgpr_workgroup_id_z 1
		.amdhsa_system_sgpr_workgroup_info 0
		.amdhsa_system_vgpr_workitem_id 0
		.amdhsa_next_free_vgpr 37
		.amdhsa_next_free_sgpr 78
		.amdhsa_reserve_vcc 1
		.amdhsa_float_round_mode_32 0
		.amdhsa_float_round_mode_16_64 0
		.amdhsa_float_denorm_mode_32 3
		.amdhsa_float_denorm_mode_16_64 3
		.amdhsa_dx10_clamp 1
		.amdhsa_ieee_mode 1
		.amdhsa_fp16_overflow 0
		.amdhsa_workgroup_processor_mode 1
		.amdhsa_memory_ordered 1
		.amdhsa_forward_progress 0
		.amdhsa_shared_vgpr_count 0
		.amdhsa_exception_fp_ieee_invalid_op 0
		.amdhsa_exception_fp_denorm_src 0
		.amdhsa_exception_fp_ieee_div_zero 0
		.amdhsa_exception_fp_ieee_overflow 0
		.amdhsa_exception_fp_ieee_underflow 0
		.amdhsa_exception_fp_ieee_inexact 0
		.amdhsa_exception_int_div_zero 0
	.end_amdhsa_kernel
	.section	.text._ZN2at6native12_GLOBAL__N_122max_pool_backward_nchwIN3c104HalfEflEEvPKT_PKlT1_SA_SA_SA_SA_SA_iiiiiiiiPS5_,"axG",@progbits,_ZN2at6native12_GLOBAL__N_122max_pool_backward_nchwIN3c104HalfEflEEvPKT_PKlT1_SA_SA_SA_SA_SA_iiiiiiiiPS5_,comdat
.Lfunc_end24:
	.size	_ZN2at6native12_GLOBAL__N_122max_pool_backward_nchwIN3c104HalfEflEEvPKT_PKlT1_SA_SA_SA_SA_SA_iiiiiiiiPS5_, .Lfunc_end24-_ZN2at6native12_GLOBAL__N_122max_pool_backward_nchwIN3c104HalfEflEEvPKT_PKlT1_SA_SA_SA_SA_SA_iiiiiiiiPS5_
                                        ; -- End function
	.section	.AMDGPU.csdata,"",@progbits
; Kernel info:
; codeLenInByte = 6428
; NumSgprs: 80
; NumVgprs: 37
; ScratchSize: 0
; MemoryBound: 0
; FloatMode: 240
; IeeeMode: 1
; LDSByteSize: 0 bytes/workgroup (compile time only)
; SGPRBlocks: 9
; VGPRBlocks: 4
; NumSGPRsForWavesPerEU: 80
; NumVGPRsForWavesPerEU: 37
; Occupancy: 16
; WaveLimiterHint : 0
; COMPUTE_PGM_RSRC2:SCRATCH_EN: 0
; COMPUTE_PGM_RSRC2:USER_SGPR: 13
; COMPUTE_PGM_RSRC2:TRAP_HANDLER: 0
; COMPUTE_PGM_RSRC2:TGID_X_EN: 1
; COMPUTE_PGM_RSRC2:TGID_Y_EN: 1
; COMPUTE_PGM_RSRC2:TGID_Z_EN: 1
; COMPUTE_PGM_RSRC2:TIDIG_COMP_CNT: 0
	.section	.text._ZN2at6native12_GLOBAL__N_122max_pool_backward_nhwcIN3c108BFloat16EfEEvPKT_PKlillliiiiiiiiiiiiiiiPS5_,"axG",@progbits,_ZN2at6native12_GLOBAL__N_122max_pool_backward_nhwcIN3c108BFloat16EfEEvPKT_PKlillliiiiiiiiiiiiiiiPS5_,comdat
	.globl	_ZN2at6native12_GLOBAL__N_122max_pool_backward_nhwcIN3c108BFloat16EfEEvPKT_PKlillliiiiiiiiiiiiiiiPS5_ ; -- Begin function _ZN2at6native12_GLOBAL__N_122max_pool_backward_nhwcIN3c108BFloat16EfEEvPKT_PKlillliiiiiiiiiiiiiiiPS5_
	.p2align	8
	.type	_ZN2at6native12_GLOBAL__N_122max_pool_backward_nhwcIN3c108BFloat16EfEEvPKT_PKlillliiiiiiiiiiiiiiiPS5_,@function
_ZN2at6native12_GLOBAL__N_122max_pool_backward_nhwcIN3c108BFloat16EfEEvPKT_PKlillliiiiiiiiiiiiiiiPS5_: ; @_ZN2at6native12_GLOBAL__N_122max_pool_backward_nhwcIN3c108BFloat16EfEEvPKT_PKlillliiiiiiiiiiiiiiiPS5_
; %bb.0:
	s_clause 0x3
	s_load_b32 s33, s[0:1], 0x10
	s_load_b128 s[28:31], s[0:1], 0x7c
	s_load_b256 s[4:11], s[0:1], 0x50
	s_load_b256 s[16:23], s[0:1], 0x30
	v_bfe_u32 v3, v0, 10, 10
	v_bfe_u32 v2, v0, 20, 10
	v_and_b32_e32 v6, 0x3ff, v0
	s_waitcnt lgkmcnt(0)
	v_cvt_f32_u32_e32 v1, s33
	s_lshr_b32 s11, s30, 16
	s_and_b32 s35, s30, 0xffff
	v_mad_u32_u24 v9, v2, s11, v3
	s_sub_i32 s24, 0, s33
	v_rcp_iflag_f32_e32 v1, v1
	s_mul_i32 s2, s35, s10
	s_and_b32 s12, s31, 0xffff
	s_mul_i32 s2, s2, s11
	s_delay_alu instid0(SALU_CYCLE_1) | instskip(SKIP_2) | instid1(VALU_DEP_1)
	s_mul_i32 s2, s2, s12
	s_waitcnt_depctr 0xfff
	v_mul_f32_e32 v1, 0x4f7ffffe, v1
	v_cvt_u32_f32_e32 v4, v1
	v_mad_u64_u32 v[0:1], null, v9, s35, v[6:7]
	s_delay_alu instid0(VALU_DEP_2) | instskip(NEXT) | instid1(VALU_DEP_1)
	v_readfirstlane_b32 s3, v4
	s_mul_i32 s24, s24, s3
	s_delay_alu instid0(SALU_CYCLE_1) | instskip(NEXT) | instid1(SALU_CYCLE_1)
	s_mul_hi_u32 s24, s3, s24
	s_add_i32 s24, s3, s24
	s_mov_b32 s3, 0
	s_mul_hi_u32 s34, s13, s24
	s_mov_b32 s24, exec_lo
	v_cmpx_gt_u32_e64 s2, v0
	s_cbranch_execz .LBB25_3
; %bb.1:
	s_mul_i32 s25, s11, s35
	v_lshl_add_u32 v1, v0, 2, 0
	v_mov_b32_e32 v4, 0
	s_mul_i32 s25, s25, s12
	s_delay_alu instid0(SALU_CYCLE_1)
	s_lshl_b32 s26, s25, 2
.LBB25_2:                               ; =>This Inner Loop Header: Depth=1
	v_add_nc_u32_e32 v0, s25, v0
	ds_store_b32 v1, v4
	v_add_nc_u32_e32 v1, s26, v1
	v_cmp_le_u32_e32 vcc_lo, s2, v0
	s_or_b32 s3, vcc_lo, s3
	s_delay_alu instid0(SALU_CYCLE_1)
	s_and_not1_b32 exec_lo, exec_lo, s3
	s_cbranch_execnz .LBB25_2
.LBB25_3:
	s_or_b32 exec_lo, exec_lo, s24
	s_clause 0x1
	s_load_b128 s[24:27], s[0:1], 0x18
	s_load_b64 s[30:31], s[0:1], 0x28
	v_cvt_f32_ubyte0_e32 v0, 0
	s_mov_b32 s2, 0
	s_waitcnt lgkmcnt(0)
	s_barrier
	buffer_gl0_inv
	s_add_u32 s3, s26, s29
	s_addc_u32 s37, s27, 0
	s_add_u32 s36, s3, -1
	s_addc_u32 s3, s37, -1
	s_delay_alu instid0(SALU_CYCLE_1)
	s_cmp_lg_u64 s[2:3], 0
	s_cbranch_scc0 .LBB25_60
; %bb.4:
	v_cvt_f32_u32_e32 v1, s29
	s_sub_u32 s39, 0, s29
	s_subb_u32 s40, 0, 0
	s_delay_alu instid0(VALU_DEP_1) | instskip(NEXT) | instid1(VALU_DEP_1)
	v_fmamk_f32 v1, v0, 0x4f800000, v1
	v_rcp_f32_e32 v1, v1
	s_waitcnt_depctr 0xfff
	v_mul_f32_e32 v1, 0x5f7ffffc, v1
	s_delay_alu instid0(VALU_DEP_1) | instskip(NEXT) | instid1(VALU_DEP_1)
	v_mul_f32_e32 v4, 0x2f800000, v1
	v_trunc_f32_e32 v4, v4
	s_delay_alu instid0(VALU_DEP_1) | instskip(SKIP_1) | instid1(VALU_DEP_2)
	v_fmamk_f32 v1, v4, 0xcf800000, v1
	v_cvt_u32_f32_e32 v4, v4
	v_cvt_u32_f32_e32 v1, v1
	s_delay_alu instid0(VALU_DEP_2) | instskip(NEXT) | instid1(VALU_DEP_2)
	v_readfirstlane_b32 s37, v4
	v_readfirstlane_b32 s38, v1
	s_delay_alu instid0(VALU_DEP_2) | instskip(NEXT) | instid1(VALU_DEP_1)
	s_mul_i32 s41, s39, s37
	s_mul_hi_u32 s43, s39, s38
	s_mul_i32 s42, s40, s38
	s_add_i32 s41, s43, s41
	s_mul_i32 s44, s39, s38
	s_add_i32 s41, s41, s42
	s_mul_hi_u32 s43, s38, s44
	s_mul_hi_u32 s45, s37, s44
	s_mul_i32 s42, s37, s44
	s_mul_hi_u32 s44, s38, s41
	s_mul_i32 s38, s38, s41
	s_mul_hi_u32 s46, s37, s41
	s_add_u32 s38, s43, s38
	s_addc_u32 s43, 0, s44
	s_add_u32 s38, s38, s42
	s_mul_i32 s41, s37, s41
	s_addc_u32 s38, s43, s45
	s_addc_u32 s42, s46, 0
	s_add_u32 s38, s38, s41
	s_addc_u32 s41, 0, s42
	v_add_co_u32 v1, s38, v1, s38
	s_delay_alu instid0(VALU_DEP_1) | instskip(SKIP_1) | instid1(VALU_DEP_1)
	s_cmp_lg_u32 s38, 0
	s_addc_u32 s37, s37, s41
	v_readfirstlane_b32 s38, v1
	s_mul_i32 s41, s39, s37
	s_delay_alu instid0(VALU_DEP_1)
	s_mul_hi_u32 s42, s39, s38
	s_mul_i32 s40, s40, s38
	s_add_i32 s41, s42, s41
	s_mul_i32 s39, s39, s38
	s_add_i32 s41, s41, s40
	s_mul_hi_u32 s42, s37, s39
	s_mul_i32 s43, s37, s39
	s_mul_hi_u32 s39, s38, s39
	s_mul_hi_u32 s44, s38, s41
	s_mul_i32 s38, s38, s41
	s_mul_hi_u32 s40, s37, s41
	s_add_u32 s38, s39, s38
	s_addc_u32 s39, 0, s44
	s_add_u32 s38, s38, s43
	s_mul_i32 s41, s37, s41
	s_addc_u32 s38, s39, s42
	s_addc_u32 s39, s40, 0
	s_add_u32 s38, s38, s41
	s_addc_u32 s39, 0, s39
	v_add_co_u32 v1, s38, v1, s38
	s_delay_alu instid0(VALU_DEP_1) | instskip(SKIP_2) | instid1(SALU_CYCLE_1)
	s_cmp_lg_u32 s38, 0
	s_addc_u32 s37, s37, s39
	s_ashr_i32 s38, s3, 31
	s_add_u32 s40, s36, s38
	s_addc_u32 s41, s3, s38
	v_readfirstlane_b32 s3, v1
	s_mov_b32 s39, s38
	s_delay_alu instid0(SALU_CYCLE_1) | instskip(NEXT) | instid1(SALU_CYCLE_1)
	s_xor_b64 s[40:41], s[40:41], s[38:39]
	s_mul_i32 s42, s40, s37
	s_delay_alu instid0(VALU_DEP_1)
	s_mul_hi_u32 s43, s40, s3
	s_mul_hi_u32 s39, s40, s37
	;; [unrolled: 1-line block ×3, first 2 shown]
	s_mul_i32 s3, s41, s3
	s_add_u32 s42, s43, s42
	s_addc_u32 s39, 0, s39
	s_mul_hi_u32 s44, s41, s37
	s_add_u32 s3, s42, s3
	s_mul_i32 s37, s41, s37
	s_addc_u32 s3, s39, s45
	s_addc_u32 s39, s44, 0
	s_add_u32 s3, s3, s37
	s_addc_u32 s37, 0, s39
	s_mul_i32 s43, s29, s3
	s_mul_hi_u32 s42, s29, s3
	v_sub_co_u32 v1, s40, s40, s43
	s_mul_i32 s37, s29, s37
	s_add_u32 s39, s3, 1
	s_add_i32 s42, s42, s37
	s_delay_alu instid0(VALU_DEP_1) | instskip(SKIP_3) | instid1(VALU_DEP_2)
	v_sub_co_u32 v4, s37, v1, s29
	s_add_u32 s43, s3, 2
	s_cmp_lg_u32 s40, 0
	v_mov_b32_e32 v5, s43
	v_cmp_le_u32_e32 vcc_lo, s29, v4
	s_subb_u32 s40, s41, s42
	s_cmp_lg_u32 s37, 0
	s_subb_u32 s37, s40, 0
	v_cndmask_b32_e64 v4, 0, -1, vcc_lo
	v_cmp_le_u32_e32 vcc_lo, s29, v1
	s_cmp_eq_u32 s37, 0
	v_cndmask_b32_e64 v1, 0, -1, vcc_lo
	s_cselect_b32 vcc_lo, -1, 0
	s_cmp_eq_u32 s40, 0
	v_cndmask_b32_e32 v4, -1, v4, vcc_lo
	s_cselect_b32 vcc_lo, -1, 0
	v_cndmask_b32_e32 v1, -1, v1, vcc_lo
	s_delay_alu instid0(VALU_DEP_2) | instskip(SKIP_1) | instid1(VALU_DEP_3)
	v_cmp_ne_u32_e32 vcc_lo, 0, v4
	v_cndmask_b32_e32 v4, s39, v5, vcc_lo
	v_cmp_ne_u32_e32 vcc_lo, 0, v1
	s_delay_alu instid0(VALU_DEP_2) | instskip(NEXT) | instid1(VALU_DEP_1)
	v_cndmask_b32_e32 v1, s3, v4, vcc_lo
	v_xor_b32_e32 v1, s38, v1
	s_delay_alu instid0(VALU_DEP_1)
	v_sub_co_u32 v4, vcc_lo, v1, s38
	s_and_not1_b32 vcc_lo, exec_lo, s2
	s_cbranch_vccnz .LBB25_6
.LBB25_5:
	v_cvt_f32_u32_e32 v1, s29
	s_sub_i32 s3, 0, s29
	s_delay_alu instid0(VALU_DEP_1) | instskip(SKIP_2) | instid1(VALU_DEP_1)
	v_rcp_iflag_f32_e32 v1, v1
	s_waitcnt_depctr 0xfff
	v_mul_f32_e32 v1, 0x4f7ffffe, v1
	v_cvt_u32_f32_e32 v1, v1
	s_delay_alu instid0(VALU_DEP_1) | instskip(NEXT) | instid1(VALU_DEP_1)
	v_readfirstlane_b32 s2, v1
	s_mul_i32 s3, s3, s2
	s_delay_alu instid0(SALU_CYCLE_1) | instskip(NEXT) | instid1(SALU_CYCLE_1)
	s_mul_hi_u32 s3, s2, s3
	s_add_i32 s2, s2, s3
	s_delay_alu instid0(SALU_CYCLE_1) | instskip(NEXT) | instid1(SALU_CYCLE_1)
	s_mul_hi_u32 s2, s36, s2
	s_mul_i32 s3, s2, s29
	s_delay_alu instid0(SALU_CYCLE_1)
	s_sub_i32 s3, s36, s3
	s_add_i32 s36, s2, 1
	s_sub_i32 s37, s3, s29
	s_cmp_ge_u32 s3, s29
	s_cselect_b32 s2, s36, s2
	s_cselect_b32 s3, s37, s3
	s_add_i32 s36, s2, 1
	s_cmp_ge_u32 s3, s29
	s_mov_b32 s3, 0
	s_cselect_b32 s2, s36, s2
	s_delay_alu instid0(SALU_CYCLE_1)
	v_dual_mov_b32 v5, s3 :: v_dual_mov_b32 v4, s2
.LBB25_6:
	s_add_u32 s3, s30, s28
	s_addc_u32 s36, s31, 0
	s_add_u32 s29, s3, -1
	s_mov_b32 s2, 0
	s_addc_u32 s3, s36, -1
	s_delay_alu instid0(SALU_CYCLE_1)
	s_cmp_lg_u64 s[2:3], 0
	s_cbranch_scc0 .LBB25_61
; %bb.7:
	v_cvt_f32_u32_e32 v1, s28
	s_sub_u32 s38, 0, s28
	s_subb_u32 s39, 0, 0
	s_delay_alu instid0(VALU_DEP_1) | instskip(NEXT) | instid1(VALU_DEP_1)
	v_fmamk_f32 v0, v0, 0x4f800000, v1
	v_rcp_f32_e32 v0, v0
	s_waitcnt_depctr 0xfff
	v_mul_f32_e32 v0, 0x5f7ffffc, v0
	s_delay_alu instid0(VALU_DEP_1) | instskip(NEXT) | instid1(VALU_DEP_1)
	v_mul_f32_e32 v1, 0x2f800000, v0
	v_trunc_f32_e32 v1, v1
	s_delay_alu instid0(VALU_DEP_1) | instskip(SKIP_1) | instid1(VALU_DEP_2)
	v_fmamk_f32 v0, v1, 0xcf800000, v0
	v_cvt_u32_f32_e32 v1, v1
	v_cvt_u32_f32_e32 v0, v0
	s_delay_alu instid0(VALU_DEP_2) | instskip(NEXT) | instid1(VALU_DEP_2)
	v_readfirstlane_b32 s36, v1
	v_readfirstlane_b32 s37, v0
	s_delay_alu instid0(VALU_DEP_2) | instskip(NEXT) | instid1(VALU_DEP_1)
	s_mul_i32 s40, s38, s36
	s_mul_hi_u32 s42, s38, s37
	s_mul_i32 s41, s39, s37
	s_add_i32 s40, s42, s40
	s_mul_i32 s43, s38, s37
	s_add_i32 s40, s40, s41
	s_mul_hi_u32 s42, s37, s43
	s_mul_hi_u32 s44, s36, s43
	s_mul_i32 s41, s36, s43
	s_mul_hi_u32 s43, s37, s40
	s_mul_i32 s37, s37, s40
	s_mul_hi_u32 s45, s36, s40
	s_add_u32 s37, s42, s37
	s_addc_u32 s42, 0, s43
	s_add_u32 s37, s37, s41
	s_mul_i32 s40, s36, s40
	s_addc_u32 s37, s42, s44
	s_addc_u32 s41, s45, 0
	s_add_u32 s37, s37, s40
	s_addc_u32 s40, 0, s41
	v_add_co_u32 v0, s37, v0, s37
	s_delay_alu instid0(VALU_DEP_1) | instskip(SKIP_1) | instid1(VALU_DEP_1)
	s_cmp_lg_u32 s37, 0
	s_addc_u32 s36, s36, s40
	v_readfirstlane_b32 s37, v0
	s_mul_i32 s40, s38, s36
	s_delay_alu instid0(VALU_DEP_1)
	s_mul_hi_u32 s41, s38, s37
	s_mul_i32 s39, s39, s37
	s_add_i32 s40, s41, s40
	s_mul_i32 s38, s38, s37
	s_add_i32 s40, s40, s39
	s_mul_hi_u32 s41, s36, s38
	s_mul_i32 s42, s36, s38
	s_mul_hi_u32 s38, s37, s38
	s_mul_hi_u32 s43, s37, s40
	s_mul_i32 s37, s37, s40
	s_mul_hi_u32 s39, s36, s40
	s_add_u32 s37, s38, s37
	s_addc_u32 s38, 0, s43
	s_add_u32 s37, s37, s42
	s_mul_i32 s40, s36, s40
	s_addc_u32 s37, s38, s41
	s_addc_u32 s38, s39, 0
	s_add_u32 s37, s37, s40
	s_addc_u32 s38, 0, s38
	v_add_co_u32 v0, s37, v0, s37
	s_delay_alu instid0(VALU_DEP_1) | instskip(SKIP_2) | instid1(SALU_CYCLE_1)
	s_cmp_lg_u32 s37, 0
	s_addc_u32 s40, s36, s38
	s_ashr_i32 s36, s3, 31
	s_add_u32 s38, s29, s36
	s_addc_u32 s39, s3, s36
	v_readfirstlane_b32 s3, v0
	s_mov_b32 s37, s36
	s_delay_alu instid0(SALU_CYCLE_1) | instskip(NEXT) | instid1(SALU_CYCLE_1)
	s_xor_b64 s[38:39], s[38:39], s[36:37]
	s_mul_i32 s41, s38, s40
	s_delay_alu instid0(VALU_DEP_1)
	s_mul_hi_u32 s42, s38, s3
	s_mul_hi_u32 s37, s38, s40
	;; [unrolled: 1-line block ×3, first 2 shown]
	s_mul_i32 s3, s39, s3
	s_add_u32 s41, s42, s41
	s_addc_u32 s37, 0, s37
	s_mul_hi_u32 s43, s39, s40
	s_add_u32 s3, s41, s3
	s_mul_i32 s40, s39, s40
	s_addc_u32 s3, s37, s44
	s_addc_u32 s37, s43, 0
	s_add_u32 s3, s3, s40
	s_addc_u32 s37, 0, s37
	s_mul_i32 s42, s28, s3
	s_mul_hi_u32 s41, s28, s3
	v_sub_co_u32 v0, s38, s38, s42
	s_mul_i32 s37, s28, s37
	s_add_u32 s40, s3, 1
	s_add_i32 s41, s41, s37
	s_delay_alu instid0(VALU_DEP_1) | instskip(SKIP_3) | instid1(VALU_DEP_2)
	v_sub_co_u32 v1, s37, v0, s28
	s_add_u32 s42, s3, 2
	s_cmp_lg_u32 s38, 0
	v_mov_b32_e32 v5, s42
	v_cmp_le_u32_e32 vcc_lo, s28, v1
	s_subb_u32 s38, s39, s41
	s_cmp_lg_u32 s37, 0
	s_subb_u32 s37, s38, 0
	v_cndmask_b32_e64 v1, 0, -1, vcc_lo
	v_cmp_le_u32_e32 vcc_lo, s28, v0
	s_cmp_eq_u32 s37, 0
	v_cndmask_b32_e64 v0, 0, -1, vcc_lo
	s_cselect_b32 vcc_lo, -1, 0
	s_cmp_eq_u32 s38, 0
	v_cndmask_b32_e32 v1, -1, v1, vcc_lo
	s_cselect_b32 vcc_lo, -1, 0
	v_cndmask_b32_e32 v0, -1, v0, vcc_lo
	s_delay_alu instid0(VALU_DEP_2) | instskip(SKIP_1) | instid1(VALU_DEP_3)
	v_cmp_ne_u32_e32 vcc_lo, 0, v1
	v_cndmask_b32_e32 v1, s40, v5, vcc_lo
	v_cmp_ne_u32_e32 vcc_lo, 0, v0
	s_delay_alu instid0(VALU_DEP_2) | instskip(NEXT) | instid1(VALU_DEP_1)
	v_cndmask_b32_e32 v0, s3, v1, vcc_lo
	v_xor_b32_e32 v0, s36, v0
	s_delay_alu instid0(VALU_DEP_1)
	v_sub_co_u32 v7, vcc_lo, v0, s36
	s_and_not1_b32 vcc_lo, exec_lo, s2
	s_cbranch_vccnz .LBB25_9
.LBB25_8:
	v_cvt_f32_u32_e32 v0, s28
	s_sub_i32 s3, 0, s28
	s_delay_alu instid0(VALU_DEP_1) | instskip(SKIP_2) | instid1(VALU_DEP_1)
	v_rcp_iflag_f32_e32 v0, v0
	s_waitcnt_depctr 0xfff
	v_mul_f32_e32 v0, 0x4f7ffffe, v0
	v_cvt_u32_f32_e32 v0, v0
	s_delay_alu instid0(VALU_DEP_1) | instskip(NEXT) | instid1(VALU_DEP_1)
	v_readfirstlane_b32 s2, v0
	s_mul_i32 s3, s3, s2
	s_delay_alu instid0(SALU_CYCLE_1) | instskip(NEXT) | instid1(SALU_CYCLE_1)
	s_mul_hi_u32 s3, s2, s3
	s_add_i32 s2, s2, s3
	s_delay_alu instid0(SALU_CYCLE_1) | instskip(NEXT) | instid1(SALU_CYCLE_1)
	s_mul_hi_u32 s2, s29, s2
	s_mul_i32 s3, s2, s28
	s_delay_alu instid0(SALU_CYCLE_1)
	s_sub_i32 s3, s29, s3
	s_add_i32 s29, s2, 1
	s_sub_i32 s36, s3, s28
	s_cmp_ge_u32 s3, s28
	s_cselect_b32 s2, s29, s2
	s_cselect_b32 s3, s36, s3
	s_add_i32 s29, s2, 1
	s_cmp_ge_u32 s3, s28
	s_mov_b32 s3, 0
	s_cselect_b32 s2, s29, s2
	s_delay_alu instid0(SALU_CYCLE_1)
	v_dual_mov_b32 v8, s3 :: v_dual_mov_b32 v7, s2
.LBB25_9:
	v_mad_u64_u32 v[0:1], null, s15, v4, v[2:3]
	v_ashrrev_i32_e32 v2, 31, v4
	s_mov_b32 s2, exec_lo
	s_delay_alu instid0(VALU_DEP_2) | instskip(SKIP_1) | instid1(VALU_DEP_2)
	v_ashrrev_i32_e32 v5, 31, v0
	v_add_co_u32 v1, vcc_lo, v4, v0
	v_add_co_ci_u32_e32 v2, vcc_lo, v2, v5, vcc_lo
	s_delay_alu instid0(VALU_DEP_1) | instskip(SKIP_1) | instid1(VALU_DEP_1)
	v_cmp_gt_i64_e32 vcc_lo, s[26:27], v[1:2]
	v_cndmask_b32_e32 v19, s26, v1, vcc_lo
	v_cmpx_lt_i32_e64 v0, v19
	s_cbranch_execz .LBB25_59
; %bb.10:
	s_mul_i32 s2, s34, s33
	s_add_i32 s3, s34, 1
	s_sub_i32 s2, s13, s2
	s_load_b64 s[28:29], s[0:1], 0x70
	s_sub_i32 s15, s2, s33
	s_cmp_ge_u32 s2, s33
	s_mul_i32 s36, s26, s25
	s_cselect_b32 s3, s3, s34
	s_cselect_b32 s2, s15, s2
	s_add_i32 s15, s3, 1
	s_cmp_ge_u32 s2, s33
	s_mul_hi_u32 s2, s26, s24
	s_cselect_b32 s37, s15, s3
	s_mul_i32 s3, s27, s24
	s_mul_i32 s15, s37, s33
	;; [unrolled: 1-line block ×3, first 2 shown]
	s_add_i32 s2, s2, s36
	s_sub_i32 s15, s13, s15
	s_mul_i32 s27, s26, s31
	s_mul_hi_u32 s33, s26, s30
	s_add_i32 s2, s2, s3
	s_ashr_i32 s13, s15, 31
	s_add_i32 s3, s33, s27
	s_mul_i32 s2, s2, s30
	s_mul_i32 s26, s26, s30
	s_add_i32 s2, s3, s2
	s_mul_i32 s3, s26, s13
	s_mul_hi_u32 s13, s26, s15
	s_mul_i32 s27, s2, s15
	s_add_i32 s13, s13, s3
	s_load_b128 s[0:3], s[0:1], 0x0
	s_add_i32 s27, s13, s27
	s_mul_i32 s26, s26, s15
	s_mul_i32 s33, s17, s16
	s_lshl_b64 s[26:27], s[26:27], 1
	v_mad_u64_u32 v[1:2], null, s14, v7, v[3:4]
	s_waitcnt lgkmcnt(0)
	s_add_u32 s13, s28, s26
	s_mul_i32 s26, s33, s15
	s_addc_u32 s15, s29, s27
	s_mul_i32 s27, s26, s25
	s_mul_hi_u32 s28, s26, s24
	s_ashr_i32 s29, s26, 31
	s_add_i32 s27, s28, s27
	s_mul_i32 s29, s29, s24
	s_mul_i32 s28, s26, s24
	s_add_i32 s29, s27, s29
	v_ashrrev_i32_e32 v4, 31, v1
	s_lshl_b64 s[26:27], s[28:29], 3
	v_ashrrev_i32_e32 v5, 31, v7
	s_add_u32 s26, s2, s26
	s_addc_u32 s27, s3, s27
	s_lshl_b64 s[2:3], s[28:29], 1
	v_mul_lo_u32 v9, s10, v9
	s_add_u32 s14, s0, s2
	s_addc_u32 s28, s1, s3
	s_abs_i32 s29, s20
	s_abs_i32 s33, s21
	v_cvt_f32_u32_e32 v2, s29
	v_cvt_f32_u32_e32 v3, s33
	s_sub_i32 s0, 0, s29
	s_sub_i32 s1, 0, s33
	v_mul_lo_u32 v9, v9, s35
	v_rcp_iflag_f32_e32 v8, v2
	v_rcp_iflag_f32_e32 v10, v3
	v_add_co_u32 v2, vcc_lo, v7, v1
	v_add_co_ci_u32_e32 v3, vcc_lo, v5, v4, vcc_lo
	s_add_i32 s18, s18, -1
	s_ashr_i32 s20, s20, 31
	s_mul_i32 s18, s18, s4
	s_delay_alu instid0(VALU_DEP_1)
	v_cmp_gt_i64_e32 vcc_lo, s[30:31], v[2:3]
	s_waitcnt_depctr 0xfff
	v_dual_mul_f32 v4, 0x4f7ffffe, v8 :: v_dual_mul_f32 v5, 0x4f7ffffe, v10
	s_not_b32 s31, s18
	s_mov_b32 s34, 0
                                        ; implicit-def: $vgpr26
                                        ; implicit-def: $vgpr27
                                        ; implicit-def: $vgpr28
                                        ; implicit-def: $vgpr29
	v_mov_b32_e32 v25, 0
	s_delay_alu instid0(VALU_DEP_2) | instskip(SKIP_3) | instid1(VALU_DEP_4)
	v_cvt_u32_f32_e32 v4, v4
	v_cvt_u32_f32_e32 v5, v5
	v_cndmask_b32_e32 v20, s30, v2, vcc_lo
	v_mad_u64_u32 v[2:3], null, s37, s35, v[6:7]
	v_mul_lo_u32 v7, s0, v4
	s_delay_alu instid0(VALU_DEP_4) | instskip(SKIP_4) | instid1(VALU_DEP_3)
	v_mul_lo_u32 v8, s1, v5
	s_add_i32 s37, s37, s9
	s_add_i32 s0, s19, -1
	s_mul_i32 s19, s35, s9
	s_mul_i32 s5, s0, s5
	v_ashrrev_i32_e32 v3, 31, v2
	v_mul_lo_u32 v23, s6, v2
	v_mul_hi_u32 v7, v4, v7
	v_mul_hi_u32 v8, v5, v8
	s_mul_i32 s9, s9, s6
	v_cmp_gt_i64_e64 s0, s[24:25], v[2:3]
	s_not_b32 s10, s5
	s_ashr_i32 s6, s21, 31
	s_mul_i32 s9, s9, s35
	s_lshl_b32 s21, s35, 2
	v_add_nc_u32_e32 v21, v4, v7
	v_lshlrev_b32_e32 v7, 2, v9
	v_add_nc_u32_e32 v22, v5, v8
	v_lshlrev_b32_e32 v8, 2, v6
	v_cmp_lt_i32_e32 vcc_lo, v1, v20
	s_delay_alu instid0(VALU_DEP_4) | instskip(NEXT) | instid1(VALU_DEP_3)
	v_mad_u64_u32 v[4:5], null, s37, s35, v[6:7]
	v_add3_u32 v24, v7, v8, 0
	s_branch .LBB25_13
.LBB25_11:                              ;   in Loop: Header=BB25_13 Depth=1
	s_or_b32 exec_lo, exec_lo, s36
.LBB25_12:                              ;   in Loop: Header=BB25_13 Depth=1
	s_delay_alu instid0(SALU_CYCLE_1) | instskip(SKIP_1) | instid1(VALU_DEP_1)
	s_or_b32 exec_lo, exec_lo, s35
	v_add_nc_u32_e32 v0, s12, v0
	v_cmp_ge_i32_e64 s1, v0, v19
	s_delay_alu instid0(VALU_DEP_1) | instskip(NEXT) | instid1(SALU_CYCLE_1)
	s_or_b32 s34, s1, s34
	s_and_not1_b32 exec_lo, exec_lo, s34
	s_cbranch_execz .LBB25_59
.LBB25_13:                              ; =>This Loop Header: Depth=1
                                        ;     Child Loop BB25_19 Depth 2
                                        ;       Child Loop BB25_28 Depth 3
                                        ;         Child Loop BB25_31 Depth 4
                                        ;           Child Loop BB25_34 Depth 5
                                        ;       Child Loop BB25_40 Depth 3
                                        ;       Child Loop BB25_51 Depth 3
	;; [unrolled: 1-line block ×3, first 2 shown]
	v_dual_mov_b32 v30, 0 :: v_dual_add_nc_u32 v5, s22, v0
	s_mov_b32 s2, exec_lo
	s_delay_alu instid0(VALU_DEP_1)
	v_cmpx_lt_i32_e64 s18, v5
	s_cbranch_execz .LBB25_15
; %bb.14:                               ;   in Loop: Header=BB25_13 Depth=1
	v_add_nc_u32_e32 v6, s31, v5
	s_delay_alu instid0(VALU_DEP_1) | instskip(NEXT) | instid1(VALU_DEP_1)
	v_sub_nc_u32_e32 v7, 0, v6
	v_max_i32_e32 v7, v6, v7
	v_ashrrev_i32_e32 v6, 31, v6
	s_delay_alu instid0(VALU_DEP_2) | instskip(NEXT) | instid1(VALU_DEP_2)
	v_mul_hi_u32 v8, v7, v21
	v_xor_b32_e32 v6, s20, v6
	s_delay_alu instid0(VALU_DEP_2) | instskip(NEXT) | instid1(VALU_DEP_1)
	v_mul_lo_u32 v9, v8, s29
	v_sub_nc_u32_e32 v7, v7, v9
	v_add_nc_u32_e32 v9, 1, v8
	s_delay_alu instid0(VALU_DEP_2) | instskip(SKIP_1) | instid1(VALU_DEP_1)
	v_subrev_nc_u32_e32 v10, s29, v7
	v_cmp_le_u32_e64 s1, s29, v7
	v_cndmask_b32_e64 v8, v8, v9, s1
	s_delay_alu instid0(VALU_DEP_3) | instskip(NEXT) | instid1(VALU_DEP_2)
	v_cndmask_b32_e64 v7, v7, v10, s1
	v_add_nc_u32_e32 v9, 1, v8
	s_delay_alu instid0(VALU_DEP_2) | instskip(NEXT) | instid1(VALU_DEP_1)
	v_cmp_le_u32_e64 s1, s29, v7
	v_cndmask_b32_e64 v7, v8, v9, s1
	s_delay_alu instid0(VALU_DEP_1) | instskip(NEXT) | instid1(VALU_DEP_1)
	v_xor_b32_e32 v7, v7, v6
	v_sub_nc_u32_e32 v6, v7, v6
	s_delay_alu instid0(VALU_DEP_1)
	v_add_nc_u32_e32 v30, 1, v6
.LBB25_15:                              ;   in Loop: Header=BB25_13 Depth=1
	s_or_b32 exec_lo, exec_lo, s2
	s_and_saveexec_b32 s35, vcc_lo
	s_cbranch_execz .LBB25_12
; %bb.16:                               ;   in Loop: Header=BB25_13 Depth=1
	v_sub_nc_u32_e32 v6, 0, v5
	v_add_nc_u32_e32 v10, 1, v30
	v_mul_lo_u32 v32, v0, s30
	s_mov_b32 s36, 0
	v_mov_b32_e32 v36, v1
	v_max_i32_e32 v6, v5, v6
	v_ashrrev_i32_e32 v5, 31, v5
	v_mul_lo_u32 v33, s7, v10
	s_delay_alu instid0(VALU_DEP_3) | instskip(NEXT) | instid1(VALU_DEP_1)
	v_mul_hi_u32 v7, v6, v21
	v_mul_lo_u32 v8, v7, s29
	s_delay_alu instid0(VALU_DEP_1) | instskip(SKIP_1) | instid1(VALU_DEP_2)
	v_sub_nc_u32_e32 v6, v6, v8
	v_add_nc_u32_e32 v8, 1, v7
	v_subrev_nc_u32_e32 v9, s29, v6
	v_cmp_le_u32_e64 s1, s29, v6
	s_delay_alu instid0(VALU_DEP_1) | instskip(NEXT) | instid1(VALU_DEP_3)
	v_cndmask_b32_e64 v7, v7, v8, s1
	v_cndmask_b32_e64 v6, v6, v9, s1
	v_xor_b32_e32 v9, s20, v5
	s_delay_alu instid0(VALU_DEP_3) | instskip(NEXT) | instid1(VALU_DEP_3)
	v_add_nc_u32_e32 v8, 1, v7
	v_cmp_le_u32_e64 s1, s29, v6
	s_delay_alu instid0(VALU_DEP_1) | instskip(NEXT) | instid1(VALU_DEP_1)
	v_cndmask_b32_e64 v5, v7, v8, s1
	v_xor_b32_e32 v6, v5, v9
	v_mul_lo_u32 v5, v30, s7
	s_delay_alu instid0(VALU_DEP_2) | instskip(NEXT) | instid1(VALU_DEP_2)
	v_sub_nc_u32_e32 v6, v6, v9
	v_add_nc_u32_e32 v8, s7, v5
	s_delay_alu instid0(VALU_DEP_2) | instskip(SKIP_1) | instid1(VALU_DEP_3)
	v_add_nc_u32_e32 v7, 1, v6
	v_ashrrev_i32_e32 v6, 31, v5
	v_ashrrev_i32_e32 v9, 31, v8
	s_delay_alu instid0(VALU_DEP_3) | instskip(NEXT) | instid1(VALU_DEP_3)
	v_min_i32_e32 v31, s16, v7
	v_lshlrev_b64 v[6:7], 3, v[5:6]
	s_delay_alu instid0(VALU_DEP_3) | instskip(NEXT) | instid1(VALU_DEP_3)
	v_lshlrev_b64 v[8:9], 3, v[8:9]
	v_sub_nc_u32_e32 v11, v31, v30
	v_cmp_eq_u32_e64 s3, v10, v31
	s_delay_alu instid0(VALU_DEP_4) | instskip(NEXT) | instid1(VALU_DEP_1)
	v_add_co_u32 v34, s1, s26, v6
	v_add_co_ci_u32_e64 v35, s1, s27, v7, s1
	s_delay_alu instid0(VALU_DEP_4) | instskip(SKIP_3) | instid1(VALU_DEP_3)
	v_cmp_gt_i32_e64 s4, 3, v11
	v_cmp_gt_i32_e64 s1, v31, v30
	v_cmp_lt_i32_e64 s2, v10, v31
	s_xor_b32 s37, s3, -1
	s_xor_b32 s38, s4, -1
	s_branch .LBB25_19
.LBB25_17:                              ;   in Loop: Header=BB25_19 Depth=2
	s_set_inst_prefetch_distance 0x2
	s_or_b32 exec_lo, exec_lo, s39
.LBB25_18:                              ;   in Loop: Header=BB25_19 Depth=2
	s_delay_alu instid0(SALU_CYCLE_1) | instskip(SKIP_1) | instid1(VALU_DEP_1)
	s_or_b32 exec_lo, exec_lo, s4
	v_add_nc_u32_e32 v36, s11, v36
	v_cmp_ge_i32_e64 s3, v36, v20
	s_delay_alu instid0(VALU_DEP_1) | instskip(NEXT) | instid1(SALU_CYCLE_1)
	s_or_b32 s36, s3, s36
	s_and_not1_b32 exec_lo, exec_lo, s36
	s_cbranch_execz .LBB25_11
.LBB25_19:                              ;   Parent Loop BB25_13 Depth=1
                                        ; =>  This Loop Header: Depth=2
                                        ;       Child Loop BB25_28 Depth 3
                                        ;         Child Loop BB25_31 Depth 4
                                        ;           Child Loop BB25_34 Depth 5
                                        ;       Child Loop BB25_40 Depth 3
                                        ;       Child Loop BB25_51 Depth 3
	;; [unrolled: 1-line block ×3, first 2 shown]
	v_dual_mov_b32 v17, 0 :: v_dual_add_nc_u32 v10, s23, v36
	s_mov_b32 s4, exec_lo
	s_delay_alu instid0(VALU_DEP_1)
	v_cmpx_lt_i32_e64 s5, v10
	s_cbranch_execz .LBB25_21
; %bb.20:                               ;   in Loop: Header=BB25_19 Depth=2
	v_add_nc_u32_e32 v11, s10, v10
	s_delay_alu instid0(VALU_DEP_1) | instskip(NEXT) | instid1(VALU_DEP_1)
	v_sub_nc_u32_e32 v12, 0, v11
	v_max_i32_e32 v12, v11, v12
	v_ashrrev_i32_e32 v11, 31, v11
	s_delay_alu instid0(VALU_DEP_2) | instskip(NEXT) | instid1(VALU_DEP_2)
	v_mul_hi_u32 v13, v12, v22
	v_xor_b32_e32 v11, s6, v11
	s_delay_alu instid0(VALU_DEP_2) | instskip(NEXT) | instid1(VALU_DEP_1)
	v_mul_lo_u32 v14, v13, s33
	v_sub_nc_u32_e32 v12, v12, v14
	v_add_nc_u32_e32 v14, 1, v13
	s_delay_alu instid0(VALU_DEP_2) | instskip(SKIP_1) | instid1(VALU_DEP_1)
	v_subrev_nc_u32_e32 v15, s33, v12
	v_cmp_le_u32_e64 s3, s33, v12
	v_cndmask_b32_e64 v13, v13, v14, s3
	s_delay_alu instid0(VALU_DEP_3) | instskip(NEXT) | instid1(VALU_DEP_2)
	v_cndmask_b32_e64 v12, v12, v15, s3
	v_add_nc_u32_e32 v14, 1, v13
	s_delay_alu instid0(VALU_DEP_2) | instskip(NEXT) | instid1(VALU_DEP_1)
	v_cmp_le_u32_e64 s3, s33, v12
	v_cndmask_b32_e64 v12, v13, v14, s3
	s_delay_alu instid0(VALU_DEP_1) | instskip(NEXT) | instid1(VALU_DEP_1)
	v_xor_b32_e32 v12, v12, v11
	v_sub_nc_u32_e32 v11, v12, v11
	s_delay_alu instid0(VALU_DEP_1)
	v_add_nc_u32_e32 v17, 1, v11
.LBB25_21:                              ;   in Loop: Header=BB25_19 Depth=2
	s_or_b32 exec_lo, exec_lo, s4
	v_sub_nc_u32_e32 v11, 0, v10
	s_delay_alu instid0(VALU_DEP_1) | instskip(SKIP_1) | instid1(VALU_DEP_2)
	v_max_i32_e32 v11, v10, v11
	v_ashrrev_i32_e32 v10, 31, v10
	v_mul_hi_u32 v12, v11, v22
	s_delay_alu instid0(VALU_DEP_2) | instskip(NEXT) | instid1(VALU_DEP_2)
	v_xor_b32_e32 v10, s6, v10
	v_mul_lo_u32 v13, v12, s33
	s_delay_alu instid0(VALU_DEP_1) | instskip(SKIP_1) | instid1(VALU_DEP_2)
	v_sub_nc_u32_e32 v11, v11, v13
	v_add_nc_u32_e32 v13, 1, v12
	v_subrev_nc_u32_e32 v14, s33, v11
	v_cmp_le_u32_e64 s3, s33, v11
	s_delay_alu instid0(VALU_DEP_1) | instskip(NEXT) | instid1(VALU_DEP_3)
	v_cndmask_b32_e64 v12, v12, v13, s3
	v_cndmask_b32_e64 v11, v11, v14, s3
	s_delay_alu instid0(VALU_DEP_2) | instskip(NEXT) | instid1(VALU_DEP_2)
	v_add_nc_u32_e32 v13, 1, v12
	v_cmp_le_u32_e64 s3, s33, v11
	s_delay_alu instid0(VALU_DEP_1) | instskip(NEXT) | instid1(VALU_DEP_1)
	v_cndmask_b32_e64 v11, v12, v13, s3
	v_xor_b32_e32 v11, v11, v10
	s_delay_alu instid0(VALU_DEP_1) | instskip(SKIP_1) | instid1(VALU_DEP_2)
	v_sub_nc_u32_e32 v10, v11, v10
	v_add_nc_u32_e32 v11, 1, v17
	v_add_nc_u32_e32 v10, 1, v10
	s_delay_alu instid0(VALU_DEP_1) | instskip(SKIP_1) | instid1(VALU_DEP_2)
	v_min_i32_e32 v18, s17, v10
	v_add_nc_u32_e32 v10, v36, v32
	v_cmp_ne_u32_e64 s3, v11, v18
	s_delay_alu instid0(VALU_DEP_1) | instskip(NEXT) | instid1(SALU_CYCLE_1)
	s_or_b32 s3, s37, s3
	s_and_saveexec_b32 s4, s3
	s_delay_alu instid0(SALU_CYCLE_1)
	s_xor_b32 s39, exec_lo, s4
	s_cbranch_execz .LBB25_53
; %bb.22:                               ;   in Loop: Header=BB25_19 Depth=2
	v_sub_nc_u32_e32 v12, v18, v17
	s_delay_alu instid0(VALU_DEP_1) | instskip(NEXT) | instid1(VALU_DEP_1)
	v_cmp_lt_i32_e64 s3, 2, v12
	s_or_b32 s3, s38, s3
	s_delay_alu instid0(SALU_CYCLE_1) | instskip(NEXT) | instid1(SALU_CYCLE_1)
	s_and_saveexec_b32 s4, s3
	s_xor_b32 s40, exec_lo, s4
	s_cbranch_execnz .LBB25_25
; %bb.23:                               ;   in Loop: Header=BB25_19 Depth=2
	s_and_not1_saveexec_b32 s40, s40
	s_cbranch_execnz .LBB25_37
.LBB25_24:                              ;   in Loop: Header=BB25_19 Depth=2
	s_or_b32 exec_lo, exec_lo, s40
	s_and_saveexec_b32 s40, s0
	s_cbranch_execnz .LBB25_50
	s_branch .LBB25_52
.LBB25_25:                              ;   in Loop: Header=BB25_19 Depth=2
	s_and_saveexec_b32 s41, s1
	s_cbranch_execz .LBB25_36
; %bb.26:                               ;   in Loop: Header=BB25_19 Depth=2
	v_mad_u64_u32 v[12:13], null, s8, v17, v[5:6]
	v_cmp_gt_i32_e64 s3, v18, v17
	v_ashrrev_i32_e32 v11, 31, v10
	v_mov_b32_e32 v37, v30
	s_mov_b32 s42, 0
	s_branch .LBB25_28
.LBB25_27:                              ;   in Loop: Header=BB25_28 Depth=3
	s_or_b32 exec_lo, exec_lo, s43
	v_add_nc_u32_e32 v37, 1, v37
	v_add_nc_u32_e32 v12, s7, v12
	s_delay_alu instid0(VALU_DEP_2) | instskip(NEXT) | instid1(VALU_DEP_1)
	v_cmp_ge_i32_e64 s4, v37, v31
	s_or_b32 s42, s4, s42
	s_delay_alu instid0(SALU_CYCLE_1)
	s_and_not1_b32 exec_lo, exec_lo, s42
	s_cbranch_execz .LBB25_36
.LBB25_28:                              ;   Parent Loop BB25_13 Depth=1
                                        ;     Parent Loop BB25_19 Depth=2
                                        ; =>    This Loop Header: Depth=3
                                        ;         Child Loop BB25_31 Depth 4
                                        ;           Child Loop BB25_34 Depth 5
	s_and_saveexec_b32 s43, s3
	s_cbranch_execz .LBB25_27
; %bb.29:                               ;   in Loop: Header=BB25_28 Depth=3
	v_mul_lo_u32 v13, v37, s7
	v_dual_mov_b32 v38, v12 :: v_dual_mov_b32 v41, v17
	s_mov_b32 s44, 0
	s_delay_alu instid0(VALU_DEP_2) | instskip(NEXT) | instid1(VALU_DEP_1)
	v_ashrrev_i32_e32 v14, 31, v13
	v_lshlrev_b64 v[13:14], 3, v[13:14]
	s_delay_alu instid0(VALU_DEP_1) | instskip(NEXT) | instid1(VALU_DEP_1)
	v_add_co_u32 v39, s4, s26, v13
	v_add_co_ci_u32_e64 v40, s4, s27, v14, s4
	s_branch .LBB25_31
.LBB25_30:                              ;   in Loop: Header=BB25_31 Depth=4
	s_set_inst_prefetch_distance 0x2
	s_or_b32 exec_lo, exec_lo, s45
	v_add_nc_u32_e32 v41, 1, v41
	v_add_nc_u32_e32 v38, s8, v38
	s_delay_alu instid0(VALU_DEP_2) | instskip(NEXT) | instid1(VALU_DEP_1)
	v_cmp_ge_i32_e64 s4, v41, v18
	s_or_b32 s44, s4, s44
	s_delay_alu instid0(SALU_CYCLE_1)
	s_and_not1_b32 exec_lo, exec_lo, s44
	s_cbranch_execz .LBB25_27
.LBB25_31:                              ;   Parent Loop BB25_13 Depth=1
                                        ;     Parent Loop BB25_19 Depth=2
                                        ;       Parent Loop BB25_28 Depth=3
                                        ; =>      This Loop Header: Depth=4
                                        ;           Child Loop BB25_34 Depth 5
	s_and_saveexec_b32 s45, s0
	s_cbranch_execz .LBB25_30
; %bb.32:                               ;   in Loop: Header=BB25_31 Depth=4
	v_mul_lo_u32 v13, v41, s8
	v_mov_b32_e32 v42, v24
	s_mov_b32 s46, 0
	s_delay_alu instid0(VALU_DEP_2) | instskip(NEXT) | instid1(VALU_DEP_1)
	v_ashrrev_i32_e32 v14, 31, v13
	v_lshlrev_b64 v[14:15], 3, v[13:14]
	v_mov_b32_e32 v13, v4
	s_delay_alu instid0(VALU_DEP_2) | instskip(NEXT) | instid1(VALU_DEP_1)
	v_add_co_u32 v43, s4, v39, v14
	v_add_co_ci_u32_e64 v44, s4, v40, v15, s4
	v_mov_b32_e32 v15, v23
	s_set_inst_prefetch_distance 0x1
	s_branch .LBB25_34
	.p2align	6
.LBB25_33:                              ;   in Loop: Header=BB25_34 Depth=5
	s_or_b32 exec_lo, exec_lo, s47
	v_ashrrev_i32_e32 v14, 31, v13
	v_add_nc_u32_e32 v15, s9, v15
	v_add_nc_u32_e32 v42, s21, v42
	s_delay_alu instid0(VALU_DEP_3) | instskip(SKIP_1) | instid1(VALU_DEP_2)
	v_cmp_le_i64_e64 s4, s[24:25], v[13:14]
	v_add_nc_u32_e32 v13, s19, v13
	s_or_b32 s46, s4, s46
	s_delay_alu instid0(SALU_CYCLE_1)
	s_and_not1_b32 exec_lo, exec_lo, s46
	s_cbranch_execz .LBB25_30
.LBB25_34:                              ;   Parent Loop BB25_13 Depth=1
                                        ;     Parent Loop BB25_19 Depth=2
                                        ;       Parent Loop BB25_28 Depth=3
                                        ;         Parent Loop BB25_31 Depth=4
                                        ; =>        This Inner Loop Header: Depth=5
	s_delay_alu instid0(VALU_DEP_1) | instskip(SKIP_1) | instid1(VALU_DEP_1)
	v_ashrrev_i32_e32 v16, 31, v15
	s_mov_b32 s47, exec_lo
	v_lshlrev_b64 v[45:46], 3, v[15:16]
	s_delay_alu instid0(VALU_DEP_1) | instskip(NEXT) | instid1(VALU_DEP_1)
	v_add_co_u32 v45, s4, v43, v45
	v_add_co_ci_u32_e64 v46, s4, v44, v46, s4
	global_load_b64 v[45:46], v[45:46], off
	s_waitcnt vmcnt(0)
	v_cmpx_eq_u64_e64 v[45:46], v[10:11]
	s_cbranch_execz .LBB25_33
; %bb.35:                               ;   in Loop: Header=BB25_34 Depth=5
	ds_load_b32 v16, v42
	v_add_nc_u32_e32 v45, v38, v15
	s_delay_alu instid0(VALU_DEP_1) | instskip(NEXT) | instid1(VALU_DEP_1)
	v_ashrrev_i32_e32 v46, 31, v45
	v_lshlrev_b64 v[45:46], 1, v[45:46]
	s_delay_alu instid0(VALU_DEP_1) | instskip(NEXT) | instid1(VALU_DEP_1)
	v_add_co_u32 v45, s4, s14, v45
	v_add_co_ci_u32_e64 v46, s4, s28, v46, s4
	global_load_u16 v14, v[45:46], off
	s_waitcnt vmcnt(0)
	v_lshlrev_b32_e32 v14, 16, v14
	s_waitcnt lgkmcnt(0)
	s_delay_alu instid0(VALU_DEP_1)
	v_add_f32_e32 v14, v16, v14
	ds_store_b32 v42, v14
	s_branch .LBB25_33
.LBB25_36:                              ;   in Loop: Header=BB25_19 Depth=2
	s_or_b32 exec_lo, exec_lo, s41
                                        ; implicit-def: $vgpr18
                                        ; implicit-def: $vgpr17
                                        ; implicit-def: $vgpr11
	s_and_not1_saveexec_b32 s40, s40
	s_cbranch_execz .LBB25_24
.LBB25_37:                              ;   in Loop: Header=BB25_19 Depth=2
	s_and_saveexec_b32 s41, s0
	s_cbranch_execz .LBB25_49
; %bb.38:                               ;   in Loop: Header=BB25_19 Depth=2
	v_mul_lo_u32 v12, v17, s8
	v_cmp_gt_i32_e64 s3, v18, v17
	v_cmp_lt_i32_e64 s4, v11, v18
	v_mov_b32_e32 v38, v24
	v_not_b32_e32 v37, v10
	v_mov_b32_e32 v17, v23
	s_and_b32 s42, s1, s3
	s_and_b32 s43, s1, s4
	v_add_nc_u32_e32 v39, v33, v12
	v_add_nc_u32_e32 v14, s8, v12
	v_ashrrev_i32_e32 v13, 31, v12
	v_add_nc_u32_e32 v40, v5, v12
	s_and_b32 s44, s2, s3
	s_and_b32 s45, s2, s4
	v_ashrrev_i32_e32 v15, 31, v14
	v_add_nc_u32_e32 v41, v33, v14
	v_add_nc_u32_e32 v42, v5, v14
	v_lshlrev_b64 v[11:12], 3, v[12:13]
	s_mov_b32 s4, 0
	v_lshlrev_b64 v[13:14], 3, v[14:15]
	v_mov_b32_e32 v15, v4
	s_branch .LBB25_40
.LBB25_39:                              ;   in Loop: Header=BB25_40 Depth=3
	s_or_b32 exec_lo, exec_lo, s46
	s_waitcnt vmcnt(0)
	v_lshlrev_b32_e32 v44, 16, v29
	v_cmp_eq_u32_e64 s3, v16, v10
	s_delay_alu instid0(VALU_DEP_2) | instskip(NEXT) | instid1(VALU_DEP_1)
	v_dual_add_f32 v44, 0, v44 :: v_dual_add_nc_u32 v17, s9, v17
	v_cndmask_b32_e64 v16, 0, v44, s3
	v_cmp_eq_u32_e64 s3, v18, v10
	ds_load_b32 v18, v38
	v_lshlrev_b32_e32 v45, 16, v28
	s_delay_alu instid0(VALU_DEP_1) | instskip(NEXT) | instid1(VALU_DEP_1)
	v_dual_add_f32 v44, v16, v45 :: v_dual_lshlrev_b32 v45, 16, v27
	v_cndmask_b32_e64 v16, v16, v44, s3
	v_cmp_eq_u32_e64 s3, v43, v10
	s_delay_alu instid0(VALU_DEP_2) | instskip(NEXT) | instid1(VALU_DEP_1)
	v_dual_add_f32 v44, v16, v45 :: v_dual_lshlrev_b32 v45, 16, v26
	v_cndmask_b32_e64 v16, v16, v44, s3
	v_cmp_eq_u32_e64 s3, v46, v10
	s_delay_alu instid0(VALU_DEP_2) | instskip(NEXT) | instid1(VALU_DEP_1)
	v_add_f32_e32 v43, v16, v45
	v_cndmask_b32_e64 v43, v16, v43, s3
	v_ashrrev_i32_e32 v16, 31, v15
	s_waitcnt lgkmcnt(0)
	s_delay_alu instid0(VALU_DEP_2) | instskip(NEXT) | instid1(VALU_DEP_2)
	v_add_f32_e32 v18, v43, v18
	v_cmp_le_i64_e64 s3, s[24:25], v[15:16]
	v_add_nc_u32_e32 v15, s19, v15
	ds_store_b32 v38, v18
	v_add_nc_u32_e32 v38, s21, v38
	s_or_b32 s4, s3, s4
	s_delay_alu instid0(SALU_CYCLE_1)
	s_and_not1_b32 exec_lo, exec_lo, s4
	s_cbranch_execz .LBB25_48
.LBB25_40:                              ;   Parent Loop BB25_13 Depth=1
                                        ;     Parent Loop BB25_19 Depth=2
                                        ; =>    This Inner Loop Header: Depth=3
	v_ashrrev_i32_e32 v18, 31, v17
	v_mov_b32_e32 v16, v37
	s_delay_alu instid0(VALU_DEP_2) | instskip(NEXT) | instid1(VALU_DEP_1)
	v_lshlrev_b64 v[43:44], 3, v[17:18]
	v_add_co_u32 v43, s3, s26, v43
	s_delay_alu instid0(VALU_DEP_1) | instskip(NEXT) | instid1(VALU_DEP_2)
	v_add_co_ci_u32_e64 v44, s3, s27, v44, s3
	v_add_co_u32 v45, s3, v43, v6
	s_delay_alu instid0(VALU_DEP_1)
	v_add_co_ci_u32_e64 v46, s3, v44, v7, s3
	s_and_saveexec_b32 s46, s42
	s_cbranch_execz .LBB25_42
; %bb.41:                               ;   in Loop: Header=BB25_40 Depth=3
	v_add_nc_u32_e32 v47, v40, v17
	v_add_co_u32 v49, s3, v45, v11
	s_delay_alu instid0(VALU_DEP_1) | instskip(NEXT) | instid1(VALU_DEP_3)
	v_add_co_ci_u32_e64 v50, s3, v46, v12, s3
	v_ashrrev_i32_e32 v48, 31, v47
	s_delay_alu instid0(VALU_DEP_1) | instskip(NEXT) | instid1(VALU_DEP_1)
	v_lshlrev_b64 v[47:48], 1, v[47:48]
	v_add_co_u32 v47, s3, s14, v47
	s_delay_alu instid0(VALU_DEP_1)
	v_add_co_ci_u32_e64 v48, s3, s28, v48, s3
	global_load_b32 v16, v[49:50], off
	global_load_u16 v29, v[47:48], off
.LBB25_42:                              ;   in Loop: Header=BB25_40 Depth=3
	s_or_b32 exec_lo, exec_lo, s46
	v_mov_b32_e32 v18, v37
	s_and_saveexec_b32 s46, s43
	s_cbranch_execz .LBB25_44
; %bb.43:                               ;   in Loop: Header=BB25_40 Depth=3
	v_add_nc_u32_e32 v47, v42, v17
	v_add_co_u32 v45, s3, v45, v13
	s_delay_alu instid0(VALU_DEP_1) | instskip(NEXT) | instid1(VALU_DEP_3)
	v_add_co_ci_u32_e64 v46, s3, v46, v14, s3
	v_ashrrev_i32_e32 v48, 31, v47
	s_delay_alu instid0(VALU_DEP_1) | instskip(NEXT) | instid1(VALU_DEP_1)
	v_lshlrev_b64 v[47:48], 1, v[47:48]
	v_add_co_u32 v47, s3, s14, v47
	s_delay_alu instid0(VALU_DEP_1)
	v_add_co_ci_u32_e64 v48, s3, s28, v48, s3
	global_load_b32 v18, v[45:46], off
	global_load_u16 v28, v[47:48], off
.LBB25_44:                              ;   in Loop: Header=BB25_40 Depth=3
	s_or_b32 exec_lo, exec_lo, s46
	v_add_co_u32 v45, s3, v43, v8
	s_delay_alu instid0(VALU_DEP_1)
	v_add_co_ci_u32_e64 v44, s3, v44, v9, s3
	v_mov_b32_e32 v43, v37
	s_and_saveexec_b32 s46, s44
	s_cbranch_execz .LBB25_46
; %bb.45:                               ;   in Loop: Header=BB25_40 Depth=3
	v_add_nc_u32_e32 v46, v39, v17
	v_add_co_u32 v48, s3, v45, v11
	s_delay_alu instid0(VALU_DEP_1) | instskip(NEXT) | instid1(VALU_DEP_3)
	v_add_co_ci_u32_e64 v49, s3, v44, v12, s3
	v_ashrrev_i32_e32 v47, 31, v46
	s_delay_alu instid0(VALU_DEP_1) | instskip(NEXT) | instid1(VALU_DEP_1)
	v_lshlrev_b64 v[46:47], 1, v[46:47]
	v_add_co_u32 v46, s3, s14, v46
	s_delay_alu instid0(VALU_DEP_1)
	v_add_co_ci_u32_e64 v47, s3, s28, v47, s3
	global_load_b32 v43, v[48:49], off
	global_load_u16 v27, v[46:47], off
.LBB25_46:                              ;   in Loop: Header=BB25_40 Depth=3
	s_or_b32 exec_lo, exec_lo, s46
	v_mov_b32_e32 v46, v37
	s_and_saveexec_b32 s46, s45
	s_cbranch_execz .LBB25_39
; %bb.47:                               ;   in Loop: Header=BB25_40 Depth=3
	v_add_nc_u32_e32 v46, v41, v17
	v_add_co_u32 v48, s3, v45, v13
	s_delay_alu instid0(VALU_DEP_1) | instskip(NEXT) | instid1(VALU_DEP_3)
	v_add_co_ci_u32_e64 v49, s3, v44, v14, s3
	v_ashrrev_i32_e32 v47, 31, v46
	s_delay_alu instid0(VALU_DEP_1) | instskip(NEXT) | instid1(VALU_DEP_1)
	v_lshlrev_b64 v[46:47], 1, v[46:47]
	v_add_co_u32 v44, s3, s14, v46
	s_delay_alu instid0(VALU_DEP_1)
	v_add_co_ci_u32_e64 v45, s3, s28, v47, s3
	global_load_b32 v46, v[48:49], off
	global_load_u16 v26, v[44:45], off
	s_branch .LBB25_39
.LBB25_48:                              ;   in Loop: Header=BB25_19 Depth=2
	s_or_b32 exec_lo, exec_lo, s4
.LBB25_49:                              ;   in Loop: Header=BB25_19 Depth=2
	s_delay_alu instid0(SALU_CYCLE_1) | instskip(NEXT) | instid1(SALU_CYCLE_1)
	s_or_b32 exec_lo, exec_lo, s41
	s_or_b32 exec_lo, exec_lo, s40
	s_and_saveexec_b32 s40, s0
	s_cbranch_execz .LBB25_52
.LBB25_50:                              ;   in Loop: Header=BB25_19 Depth=2
	v_ashrrev_i32_e32 v13, 31, v10
	v_mul_lo_u32 v14, v10, s25
	v_mad_u64_u32 v[11:12], null, v10, s24, 0
	s_mov_b32 s41, 0
	s_delay_alu instid0(VALU_DEP_3) | instskip(NEXT) | instid1(VALU_DEP_1)
	v_mul_lo_u32 v10, v13, s24
	v_add3_u32 v12, v12, v14, v10
	v_mov_b32_e32 v14, v24
	v_mov_b32_e32 v10, v4
	s_delay_alu instid0(VALU_DEP_3) | instskip(NEXT) | instid1(VALU_DEP_1)
	v_lshlrev_b64 v[11:12], 1, v[11:12]
	v_add_co_u32 v15, s3, s13, v11
	s_delay_alu instid0(VALU_DEP_1)
	v_add_co_ci_u32_e64 v16, s3, s15, v12, s3
	v_dual_mov_b32 v13, v3 :: v_dual_mov_b32 v12, v2
	s_set_inst_prefetch_distance 0x1
	.p2align	6
.LBB25_51:                              ;   Parent Loop BB25_13 Depth=1
                                        ;     Parent Loop BB25_19 Depth=2
                                        ; =>    This Inner Loop Header: Depth=3
	ds_load_b32 v37, v14
	v_lshlrev_b64 v[17:18], 1, v[12:13]
	v_ashrrev_i32_e32 v11, 31, v10
	ds_store_b32 v14, v25
	v_dual_mov_b32 v13, v11 :: v_dual_add_nc_u32 v14, s21, v14
	v_add_co_u32 v17, s4, v15, v17
	s_delay_alu instid0(VALU_DEP_1) | instskip(SKIP_3) | instid1(VALU_DEP_2)
	v_add_co_ci_u32_e64 v18, s4, v16, v18, s4
	v_mov_b32_e32 v12, v10
	v_cmp_le_i64_e64 s3, s[24:25], v[10:11]
	v_add_nc_u32_e32 v10, s19, v10
	s_or_b32 s41, s3, s41
	s_waitcnt lgkmcnt(1)
	v_bfe_u32 v38, v37, 16, 1
	v_cmp_o_f32_e64 s4, v37, v37
	s_delay_alu instid0(VALU_DEP_2) | instskip(NEXT) | instid1(VALU_DEP_1)
	v_add3_u32 v38, v37, v38, 0x7fff
	v_lshrrev_b32_e32 v11, 16, v38
	s_delay_alu instid0(VALU_DEP_1)
	v_cndmask_b32_e64 v11, 0x7fc0, v11, s4
	global_store_b16 v[17:18], v11, off
	s_and_not1_b32 exec_lo, exec_lo, s41
	s_cbranch_execnz .LBB25_51
.LBB25_52:                              ;   in Loop: Header=BB25_19 Depth=2
	s_set_inst_prefetch_distance 0x2
	s_or_b32 exec_lo, exec_lo, s40
                                        ; implicit-def: $vgpr17
                                        ; implicit-def: $vgpr10
.LBB25_53:                              ;   in Loop: Header=BB25_19 Depth=2
	s_and_not1_saveexec_b32 s4, s39
	s_cbranch_execz .LBB25_18
; %bb.54:                               ;   in Loop: Header=BB25_19 Depth=2
	s_and_saveexec_b32 s39, s0
	s_cbranch_execz .LBB25_17
; %bb.55:                               ;   in Loop: Header=BB25_19 Depth=2
	v_ashrrev_i32_e32 v11, 31, v10
	v_mul_lo_u32 v13, v17, s8
	v_mul_lo_u32 v12, v10, s25
	v_mad_u64_u32 v[15:16], null, v10, s24, 0
	s_delay_alu instid0(VALU_DEP_4) | instskip(SKIP_1) | instid1(VALU_DEP_4)
	v_mul_lo_u32 v17, v11, s24
	s_mov_b32 s40, 0
	v_ashrrev_i32_e32 v14, 31, v13
	v_add_nc_u32_e32 v18, v13, v5
	s_delay_alu instid0(VALU_DEP_3) | instskip(NEXT) | instid1(VALU_DEP_3)
	v_add3_u32 v16, v16, v12, v17
	v_lshlrev_b64 v[37:38], 3, v[13:14]
	v_mov_b32_e32 v12, v4
	v_mov_b32_e32 v14, v23
	s_delay_alu instid0(VALU_DEP_4) | instskip(NEXT) | instid1(VALU_DEP_4)
	v_lshlrev_b64 v[15:16], 1, v[15:16]
	v_add_co_u32 v37, s3, v34, v37
	s_delay_alu instid0(VALU_DEP_1) | instskip(NEXT) | instid1(VALU_DEP_3)
	v_add_co_ci_u32_e64 v38, s3, v35, v38, s3
	v_add_co_u32 v39, s3, s13, v15
	s_delay_alu instid0(VALU_DEP_1)
	v_add_co_ci_u32_e64 v40, s3, s15, v16, s3
	v_dual_mov_b32 v17, v3 :: v_dual_mov_b32 v16, v2
	s_set_inst_prefetch_distance 0x1
	s_branch .LBB25_57
	.p2align	6
.LBB25_56:                              ;   in Loop: Header=BB25_57 Depth=3
	s_or_b32 exec_lo, exec_lo, s41
	v_ashrrev_i32_e32 v13, 31, v12
	v_add_nc_u32_e32 v14, s9, v14
	s_delay_alu instid0(VALU_DEP_2) | instskip(SKIP_2) | instid1(VALU_DEP_3)
	v_cmp_le_i64_e64 s3, s[24:25], v[12:13]
	v_dual_mov_b32 v17, v13 :: v_dual_mov_b32 v16, v12
	v_add_nc_u32_e32 v12, s19, v12
	s_or_b32 s40, s3, s40
	s_delay_alu instid0(SALU_CYCLE_1)
	s_and_not1_b32 exec_lo, exec_lo, s40
	s_cbranch_execz .LBB25_17
.LBB25_57:                              ;   Parent Loop BB25_13 Depth=1
                                        ;     Parent Loop BB25_19 Depth=2
                                        ; =>    This Inner Loop Header: Depth=3
	v_ashrrev_i32_e32 v15, 31, v14
	s_mov_b32 s41, exec_lo
	s_delay_alu instid0(VALU_DEP_1) | instskip(NEXT) | instid1(VALU_DEP_1)
	v_lshlrev_b64 v[41:42], 3, v[14:15]
	v_add_co_u32 v41, s3, v37, v41
	s_delay_alu instid0(VALU_DEP_1)
	v_add_co_ci_u32_e64 v42, s3, v38, v42, s3
	global_load_b64 v[41:42], v[41:42], off
	s_waitcnt vmcnt(0)
	v_cmpx_eq_u64_e64 v[41:42], v[10:11]
	s_cbranch_execz .LBB25_56
; %bb.58:                               ;   in Loop: Header=BB25_57 Depth=3
	v_add_nc_u32_e32 v41, v18, v14
	v_lshlrev_b64 v[15:16], 1, v[16:17]
	s_delay_alu instid0(VALU_DEP_2) | instskip(NEXT) | instid1(VALU_DEP_1)
	v_ashrrev_i32_e32 v42, 31, v41
	v_lshlrev_b64 v[41:42], 1, v[41:42]
	s_delay_alu instid0(VALU_DEP_1) | instskip(NEXT) | instid1(VALU_DEP_1)
	v_add_co_u32 v41, s3, s14, v41
	v_add_co_ci_u32_e64 v42, s3, s28, v42, s3
	v_add_co_u32 v15, s3, v39, v15
	s_delay_alu instid0(VALU_DEP_1)
	v_add_co_ci_u32_e64 v16, s3, v40, v16, s3
	global_load_u16 v13, v[41:42], off
	s_waitcnt vmcnt(0)
	global_store_b16 v[15:16], v13, off
	s_branch .LBB25_56
.LBB25_59:
	s_nop 0
	s_sendmsg sendmsg(MSG_DEALLOC_VGPRS)
	s_endpgm
.LBB25_60:
                                        ; implicit-def: $vgpr4_vgpr5
	s_branch .LBB25_5
.LBB25_61:
                                        ; implicit-def: $vgpr7_vgpr8
	s_branch .LBB25_8
	.section	.rodata,"a",@progbits
	.p2align	6, 0x0
	.amdhsa_kernel _ZN2at6native12_GLOBAL__N_122max_pool_backward_nhwcIN3c108BFloat16EfEEvPKT_PKlillliiiiiiiiiiiiiiiPS5_
		.amdhsa_group_segment_fixed_size 0
		.amdhsa_private_segment_fixed_size 0
		.amdhsa_kernarg_size 376
		.amdhsa_user_sgpr_count 13
		.amdhsa_user_sgpr_dispatch_ptr 0
		.amdhsa_user_sgpr_queue_ptr 0
		.amdhsa_user_sgpr_kernarg_segment_ptr 1
		.amdhsa_user_sgpr_dispatch_id 0
		.amdhsa_user_sgpr_private_segment_size 0
		.amdhsa_wavefront_size32 1
		.amdhsa_uses_dynamic_stack 0
		.amdhsa_enable_private_segment 0
		.amdhsa_system_sgpr_workgroup_id_x 1
		.amdhsa_system_sgpr_workgroup_id_y 1
		.amdhsa_system_sgpr_workgroup_id_z 1
		.amdhsa_system_sgpr_workgroup_info 0
		.amdhsa_system_vgpr_workitem_id 2
		.amdhsa_next_free_vgpr 51
		.amdhsa_next_free_sgpr 48
		.amdhsa_reserve_vcc 1
		.amdhsa_float_round_mode_32 0
		.amdhsa_float_round_mode_16_64 0
		.amdhsa_float_denorm_mode_32 3
		.amdhsa_float_denorm_mode_16_64 3
		.amdhsa_dx10_clamp 1
		.amdhsa_ieee_mode 1
		.amdhsa_fp16_overflow 0
		.amdhsa_workgroup_processor_mode 1
		.amdhsa_memory_ordered 1
		.amdhsa_forward_progress 0
		.amdhsa_shared_vgpr_count 0
		.amdhsa_exception_fp_ieee_invalid_op 0
		.amdhsa_exception_fp_denorm_src 0
		.amdhsa_exception_fp_ieee_div_zero 0
		.amdhsa_exception_fp_ieee_overflow 0
		.amdhsa_exception_fp_ieee_underflow 0
		.amdhsa_exception_fp_ieee_inexact 0
		.amdhsa_exception_int_div_zero 0
	.end_amdhsa_kernel
	.section	.text._ZN2at6native12_GLOBAL__N_122max_pool_backward_nhwcIN3c108BFloat16EfEEvPKT_PKlillliiiiiiiiiiiiiiiPS5_,"axG",@progbits,_ZN2at6native12_GLOBAL__N_122max_pool_backward_nhwcIN3c108BFloat16EfEEvPKT_PKlillliiiiiiiiiiiiiiiPS5_,comdat
.Lfunc_end25:
	.size	_ZN2at6native12_GLOBAL__N_122max_pool_backward_nhwcIN3c108BFloat16EfEEvPKT_PKlillliiiiiiiiiiiiiiiPS5_, .Lfunc_end25-_ZN2at6native12_GLOBAL__N_122max_pool_backward_nhwcIN3c108BFloat16EfEEvPKT_PKlillliiiiiiiiiiiiiiiPS5_
                                        ; -- End function
	.section	.AMDGPU.csdata,"",@progbits
; Kernel info:
; codeLenInByte = 5104
; NumSgprs: 50
; NumVgprs: 51
; ScratchSize: 0
; MemoryBound: 0
; FloatMode: 240
; IeeeMode: 1
; LDSByteSize: 0 bytes/workgroup (compile time only)
; SGPRBlocks: 6
; VGPRBlocks: 6
; NumSGPRsForWavesPerEU: 50
; NumVGPRsForWavesPerEU: 51
; Occupancy: 16
; WaveLimiterHint : 0
; COMPUTE_PGM_RSRC2:SCRATCH_EN: 0
; COMPUTE_PGM_RSRC2:USER_SGPR: 13
; COMPUTE_PGM_RSRC2:TRAP_HANDLER: 0
; COMPUTE_PGM_RSRC2:TGID_X_EN: 1
; COMPUTE_PGM_RSRC2:TGID_Y_EN: 1
; COMPUTE_PGM_RSRC2:TGID_Z_EN: 1
; COMPUTE_PGM_RSRC2:TIDIG_COMP_CNT: 2
	.section	.text._ZN2at6native12_GLOBAL__N_122max_pool_backward_nchwIN3c108BFloat16EfiEEvPKT_PKlT1_SA_SA_SA_SA_SA_iiiiiiiiPS5_,"axG",@progbits,_ZN2at6native12_GLOBAL__N_122max_pool_backward_nchwIN3c108BFloat16EfiEEvPKT_PKlT1_SA_SA_SA_SA_SA_iiiiiiiiPS5_,comdat
	.globl	_ZN2at6native12_GLOBAL__N_122max_pool_backward_nchwIN3c108BFloat16EfiEEvPKT_PKlT1_SA_SA_SA_SA_SA_iiiiiiiiPS5_ ; -- Begin function _ZN2at6native12_GLOBAL__N_122max_pool_backward_nchwIN3c108BFloat16EfiEEvPKT_PKlT1_SA_SA_SA_SA_SA_iiiiiiiiPS5_
	.p2align	8
	.type	_ZN2at6native12_GLOBAL__N_122max_pool_backward_nchwIN3c108BFloat16EfiEEvPKT_PKlT1_SA_SA_SA_SA_SA_iiiiiiiiPS5_,@function
_ZN2at6native12_GLOBAL__N_122max_pool_backward_nchwIN3c108BFloat16EfiEEvPKT_PKlT1_SA_SA_SA_SA_SA_iiiiiiiiPS5_: ; @_ZN2at6native12_GLOBAL__N_122max_pool_backward_nchwIN3c108BFloat16EfiEEvPKT_PKlT1_SA_SA_SA_SA_SA_iiiiiiiiPS5_
; %bb.0:
	s_clause 0x1
	s_load_b32 s12, s[0:1], 0x5c
	s_load_b256 s[4:11], s[0:1], 0x10
	v_mov_b32_e32 v1, 0
	s_add_u32 s2, s0, 0x50
	s_addc_u32 s3, s1, 0
	s_waitcnt lgkmcnt(0)
	s_and_b32 s34, s12, 0xffff
	s_mul_i32 s12, s7, s6
	v_mad_u64_u32 v[2:3], null, s34, s13, v[0:1]
	s_ashr_i32 s13, s12, 31
	s_mov_b32 s6, exec_lo
	s_delay_alu instid0(VALU_DEP_1)
	v_cmpx_gt_i64_e64 s[12:13], v[2:3]
	s_cbranch_execz .LBB26_23
; %bb.1:
	s_load_b256 s[16:23], s[0:1], 0x30
	s_add_i32 s6, s10, -1
	s_add_i32 s24, s11, -1
	s_load_b32 s35, s[2:3], 0x0
	s_mul_i32 s36, s9, s8
	s_mov_b32 s33, 0
	s_mul_i32 s38, s36, s5
	s_waitcnt lgkmcnt(0)
	s_mul_i32 s6, s6, s20
	s_mul_i32 s24, s24, s21
	s_not_b32 s25, s6
	s_not_b32 s26, s24
	s_cmp_lt_i32 s14, s4
	s_mul_i32 s34, s35, s34
	s_cselect_b32 s27, -1, 0
	s_cmp_lt_i32 s15, s5
	s_cselect_b32 s28, -1, 0
	s_abs_i32 s29, s7
	s_abs_i32 s30, s16
	v_cvt_f32_u32_e32 v0, s29
	v_cvt_f32_u32_e32 v1, s30
	s_abs_i32 s31, s17
	s_sub_i32 s10, 0, s29
	v_cvt_f32_u32_e32 v4, s31
	v_rcp_iflag_f32_e32 v0, v0
	v_rcp_iflag_f32_e32 v1, v1
	s_sub_i32 s11, 0, s30
	s_sub_i32 s20, 0, s31
	v_rcp_iflag_f32_e32 v4, v4
	s_ashr_i32 s35, s7, 31
	s_ashr_i32 s16, s16, 31
	;; [unrolled: 1-line block ×3, first 2 shown]
	s_waitcnt_depctr 0xfff
	v_dual_mul_f32 v0, 0x4f7ffffe, v0 :: v_dual_mul_f32 v1, 0x4f7ffffe, v1
	s_delay_alu instid0(VALU_DEP_1) | instskip(NEXT) | instid1(VALU_DEP_2)
	v_cvt_u32_f32_e32 v0, v0
	v_cvt_u32_f32_e32 v5, v1
	s_delay_alu instid0(VALU_DEP_2) | instskip(NEXT) | instid1(VALU_DEP_2)
	v_mul_lo_u32 v1, s10, v0
	v_mul_lo_u32 v6, s11, v5
	s_delay_alu instid0(VALU_DEP_2) | instskip(SKIP_1) | instid1(VALU_DEP_3)
	v_mul_hi_u32 v1, v0, v1
	v_mul_f32_e32 v4, 0x4f7ffffe, v4
	v_mul_hi_u32 v6, v5, v6
	s_delay_alu instid0(VALU_DEP_3) | instskip(NEXT) | instid1(VALU_DEP_3)
	v_add_nc_u32_e32 v1, v0, v1
	v_cvt_u32_f32_e32 v4, v4
	s_delay_alu instid0(VALU_DEP_3) | instskip(NEXT) | instid1(VALU_DEP_2)
	v_add_nc_u32_e32 v9, v5, v6
	v_mul_lo_u32 v7, s20, v4
	s_clause 0x1
	s_load_b128 s[20:23], s[0:1], 0x0
	s_load_b64 s[10:11], s[0:1], 0x48
	s_mul_i32 s0, s14, s5
	s_delay_alu instid0(SALU_CYCLE_1) | instskip(NEXT) | instid1(SALU_CYCLE_1)
	s_add_i32 s0, s15, s0
	s_mul_i32 s37, s8, s0
	s_delay_alu instid0(VALU_DEP_1) | instskip(NEXT) | instid1(VALU_DEP_1)
	v_mul_hi_u32 v7, v4, v7
	v_add_nc_u32_e32 v10, v4, v7
	s_branch .LBB26_3
.LBB26_2:                               ;   in Loop: Header=BB26_3 Depth=1
	v_add_co_u32 v2, vcc_lo, v2, s34
	v_add_co_ci_u32_e32 v3, vcc_lo, 0, v3, vcc_lo
	s_delay_alu instid0(VALU_DEP_1) | instskip(SKIP_1) | instid1(SALU_CYCLE_1)
	v_cmp_le_i64_e32 vcc_lo, s[12:13], v[2:3]
	s_or_b32 s33, vcc_lo, s33
	s_and_not1_b32 exec_lo, exec_lo, s33
	s_cbranch_execz .LBB26_23
.LBB26_3:                               ; =>This Loop Header: Depth=1
                                        ;     Child Loop BB26_10 Depth 2
                                        ;       Child Loop BB26_14 Depth 3
                                        ;         Child Loop BB26_18 Depth 4
                                        ;           Child Loop BB26_21 Depth 5
	v_sub_nc_u32_e32 v0, 0, v2
	s_mov_b32 s0, exec_lo
	v_mov_b32_e32 v11, 0
	s_delay_alu instid0(VALU_DEP_2) | instskip(NEXT) | instid1(VALU_DEP_1)
	v_max_i32_e32 v0, v2, v0
	v_mul_hi_u32 v4, v0, v1
	s_delay_alu instid0(VALU_DEP_1) | instskip(NEXT) | instid1(VALU_DEP_1)
	v_mul_lo_u32 v5, v4, s29
	v_sub_nc_u32_e32 v0, v0, v5
	s_delay_alu instid0(VALU_DEP_1) | instskip(SKIP_1) | instid1(VALU_DEP_2)
	v_subrev_nc_u32_e32 v6, s29, v0
	v_cmp_le_u32_e32 vcc_lo, s29, v0
	v_dual_cndmask_b32 v0, v0, v6 :: v_dual_add_nc_u32 v5, 1, v4
	s_delay_alu instid0(VALU_DEP_1) | instskip(SKIP_1) | instid1(VALU_DEP_3)
	v_cndmask_b32_e32 v4, v4, v5, vcc_lo
	v_ashrrev_i32_e32 v5, 31, v2
	v_cmp_le_u32_e32 vcc_lo, s29, v0
	s_delay_alu instid0(VALU_DEP_3) | instskip(NEXT) | instid1(VALU_DEP_3)
	v_add_nc_u32_e32 v6, 1, v4
	v_xor_b32_e32 v5, s35, v5
	s_delay_alu instid0(VALU_DEP_2) | instskip(NEXT) | instid1(VALU_DEP_1)
	v_cndmask_b32_e32 v0, v4, v6, vcc_lo
	v_xor_b32_e32 v0, v0, v5
	s_delay_alu instid0(VALU_DEP_1) | instskip(SKIP_1) | instid1(VALU_DEP_2)
	v_sub_nc_u32_e32 v5, v0, v5
	v_mov_b32_e32 v0, 0
	v_add_nc_u32_e32 v4, s18, v5
	s_delay_alu instid0(VALU_DEP_1)
	v_cmpx_lt_i32_e64 s6, v4
	s_cbranch_execz .LBB26_5
; %bb.4:                                ;   in Loop: Header=BB26_3 Depth=1
	v_add_nc_u32_e32 v6, s25, v4
	s_delay_alu instid0(VALU_DEP_1) | instskip(NEXT) | instid1(VALU_DEP_1)
	v_sub_nc_u32_e32 v7, 0, v6
	v_max_i32_e32 v7, v6, v7
	s_delay_alu instid0(VALU_DEP_1) | instskip(NEXT) | instid1(VALU_DEP_1)
	v_mul_hi_u32 v8, v7, v9
	v_mul_lo_u32 v11, v8, s30
	s_delay_alu instid0(VALU_DEP_1) | instskip(SKIP_1) | instid1(VALU_DEP_2)
	v_sub_nc_u32_e32 v7, v7, v11
	v_add_nc_u32_e32 v11, 1, v8
	v_subrev_nc_u32_e32 v12, s30, v7
	v_cmp_le_u32_e32 vcc_lo, s30, v7
	s_delay_alu instid0(VALU_DEP_2) | instskip(NEXT) | instid1(VALU_DEP_1)
	v_dual_cndmask_b32 v8, v8, v11 :: v_dual_cndmask_b32 v7, v7, v12
	v_add_nc_u32_e32 v11, 1, v8
	s_delay_alu instid0(VALU_DEP_2) | instskip(NEXT) | instid1(VALU_DEP_2)
	v_cmp_le_u32_e32 vcc_lo, s30, v7
	v_cndmask_b32_e32 v7, v8, v11, vcc_lo
	v_ashrrev_i32_e32 v6, 31, v6
	s_delay_alu instid0(VALU_DEP_1) | instskip(NEXT) | instid1(VALU_DEP_1)
	v_xor_b32_e32 v6, s16, v6
	v_xor_b32_e32 v7, v7, v6
	s_delay_alu instid0(VALU_DEP_1) | instskip(NEXT) | instid1(VALU_DEP_1)
	v_sub_nc_u32_e32 v6, v7, v6
	v_add_nc_u32_e32 v11, 1, v6
.LBB26_5:                               ;   in Loop: Header=BB26_3 Depth=1
	s_or_b32 exec_lo, exec_lo, s0
	v_mul_lo_u32 v5, v5, s7
	s_mov_b32 s0, exec_lo
	s_delay_alu instid0(VALU_DEP_1) | instskip(NEXT) | instid1(VALU_DEP_1)
	v_sub_nc_u32_e32 v5, v2, v5
	v_add_nc_u32_e32 v5, s19, v5
	s_delay_alu instid0(VALU_DEP_1)
	v_cmpx_lt_i32_e64 s24, v5
	s_cbranch_execz .LBB26_7
; %bb.6:                                ;   in Loop: Header=BB26_3 Depth=1
	v_add_nc_u32_e32 v0, s26, v5
	s_delay_alu instid0(VALU_DEP_1) | instskip(NEXT) | instid1(VALU_DEP_1)
	v_sub_nc_u32_e32 v6, 0, v0
	v_max_i32_e32 v6, v0, v6
	s_delay_alu instid0(VALU_DEP_1) | instskip(NEXT) | instid1(VALU_DEP_1)
	v_mul_hi_u32 v7, v6, v10
	v_mul_lo_u32 v8, v7, s31
	s_delay_alu instid0(VALU_DEP_1) | instskip(SKIP_1) | instid1(VALU_DEP_2)
	v_sub_nc_u32_e32 v6, v6, v8
	v_add_nc_u32_e32 v8, 1, v7
	v_subrev_nc_u32_e32 v12, s31, v6
	v_cmp_le_u32_e32 vcc_lo, s31, v6
	s_delay_alu instid0(VALU_DEP_3) | instskip(NEXT) | instid1(VALU_DEP_3)
	v_cndmask_b32_e32 v7, v7, v8, vcc_lo
	v_cndmask_b32_e32 v6, v6, v12, vcc_lo
	v_ashrrev_i32_e32 v0, 31, v0
	s_delay_alu instid0(VALU_DEP_3) | instskip(NEXT) | instid1(VALU_DEP_3)
	v_add_nc_u32_e32 v8, 1, v7
	v_cmp_le_u32_e32 vcc_lo, s31, v6
	s_delay_alu instid0(VALU_DEP_3) | instskip(NEXT) | instid1(VALU_DEP_3)
	v_xor_b32_e32 v0, s17, v0
	v_cndmask_b32_e32 v6, v7, v8, vcc_lo
	s_delay_alu instid0(VALU_DEP_1) | instskip(NEXT) | instid1(VALU_DEP_1)
	v_xor_b32_e32 v6, v6, v0
	v_sub_nc_u32_e32 v0, v6, v0
	s_delay_alu instid0(VALU_DEP_1)
	v_add_nc_u32_e32 v0, 1, v0
.LBB26_7:                               ;   in Loop: Header=BB26_3 Depth=1
	s_or_b32 exec_lo, exec_lo, s0
	s_delay_alu instid0(SALU_CYCLE_1)
	s_and_not1_b32 vcc_lo, exec_lo, s27
	s_cbranch_vccnz .LBB26_2
; %bb.8:                                ;   in Loop: Header=BB26_3 Depth=1
	v_sub_nc_u32_e32 v6, 0, v5
	v_sub_nc_u32_e32 v7, 0, v4
	s_load_b32 s39, s[2:3], 0x4
	s_mov_b32 s41, s14
	s_delay_alu instid0(VALU_DEP_2) | instskip(NEXT) | instid1(VALU_DEP_2)
	v_max_i32_e32 v6, v5, v6
	v_max_i32_e32 v7, v4, v7
	v_ashrrev_i32_e32 v5, 31, v5
	v_ashrrev_i32_e32 v4, 31, v4
	s_delay_alu instid0(VALU_DEP_4) | instskip(NEXT) | instid1(VALU_DEP_4)
	v_mul_hi_u32 v8, v6, v10
	v_mul_hi_u32 v12, v7, v9
	s_delay_alu instid0(VALU_DEP_4) | instskip(NEXT) | instid1(VALU_DEP_4)
	v_xor_b32_e32 v5, s17, v5
	v_xor_b32_e32 v4, s16, v4
	s_delay_alu instid0(VALU_DEP_4) | instskip(NEXT) | instid1(VALU_DEP_4)
	v_mul_lo_u32 v13, v8, s31
	v_mul_lo_u32 v14, v12, s30
	s_waitcnt lgkmcnt(0)
	s_mul_i32 s40, s38, s39
	s_delay_alu instid0(VALU_DEP_2) | instskip(NEXT) | instid1(VALU_DEP_2)
	v_sub_nc_u32_e32 v6, v6, v13
	v_sub_nc_u32_e32 v7, v7, v14
	v_add_nc_u32_e32 v14, 1, v8
	s_delay_alu instid0(VALU_DEP_3) | instskip(NEXT) | instid1(VALU_DEP_3)
	v_cmp_le_u32_e64 s0, s31, v6
	v_subrev_nc_u32_e32 v16, s30, v7
	v_cmp_le_u32_e32 vcc_lo, s30, v7
	v_subrev_nc_u32_e32 v15, s31, v6
	s_delay_alu instid0(VALU_DEP_4) | instskip(NEXT) | instid1(VALU_DEP_4)
	v_cndmask_b32_e64 v8, v8, v14, s0
	v_cndmask_b32_e32 v7, v7, v16, vcc_lo
	s_delay_alu instid0(VALU_DEP_3) | instskip(NEXT) | instid1(VALU_DEP_3)
	v_cndmask_b32_e64 v6, v6, v15, s0
	v_add_nc_u32_e32 v14, 1, v8
	v_add_nc_u32_e32 v13, 1, v12
	s_delay_alu instid0(VALU_DEP_1) | instskip(SKIP_1) | instid1(VALU_DEP_2)
	v_cndmask_b32_e32 v12, v12, v13, vcc_lo
	v_cmp_le_u32_e32 vcc_lo, s30, v7
	v_add_nc_u32_e32 v13, 1, v12
	s_delay_alu instid0(VALU_DEP_1) | instskip(SKIP_1) | instid1(VALU_DEP_2)
	v_cndmask_b32_e32 v7, v12, v13, vcc_lo
	v_cmp_le_u32_e32 vcc_lo, s31, v6
	v_xor_b32_e32 v7, v7, v4
	v_cndmask_b32_e32 v6, v8, v14, vcc_lo
	v_add_nc_u32_e32 v8, s37, v11
	s_delay_alu instid0(VALU_DEP_3) | instskip(NEXT) | instid1(VALU_DEP_3)
	v_sub_nc_u32_e32 v4, v7, v4
	v_xor_b32_e32 v6, v6, v5
	s_delay_alu instid0(VALU_DEP_2) | instskip(NEXT) | instid1(VALU_DEP_2)
	v_add_nc_u32_e32 v4, 1, v4
	v_sub_nc_u32_e32 v5, v6, v5
	v_mad_u64_u32 v[6:7], null, s9, v8, v[0:1]
	s_delay_alu instid0(VALU_DEP_3) | instskip(NEXT) | instid1(VALU_DEP_3)
	v_min_i32_e32 v12, s8, v4
	v_dual_mov_b32 v4, v2 :: v_dual_add_nc_u32 v5, 1, v5
	s_delay_alu instid0(VALU_DEP_2) | instskip(NEXT) | instid1(VALU_DEP_2)
	v_cmp_lt_i32_e64 s0, v11, v12
	v_min_i32_e32 v13, s9, v5
	v_ashrrev_i32_e32 v5, 31, v2
	s_delay_alu instid0(VALU_DEP_2)
	v_cmp_lt_i32_e64 s1, v0, v13
	s_branch .LBB26_10
.LBB26_9:                               ;   in Loop: Header=BB26_10 Depth=2
	v_add_nc_u32_e32 v6, s40, v6
	s_add_i32 s41, s39, s41
	s_delay_alu instid0(SALU_CYCLE_1)
	s_cmp_ge_i32 s41, s4
	s_cbranch_scc1 .LBB26_2
.LBB26_10:                              ;   Parent Loop BB26_3 Depth=1
                                        ; =>  This Loop Header: Depth=2
                                        ;       Child Loop BB26_14 Depth 3
                                        ;         Child Loop BB26_18 Depth 4
                                        ;           Child Loop BB26_21 Depth 5
	s_and_not1_b32 vcc_lo, exec_lo, s28
	s_cbranch_vccnz .LBB26_9
; %bb.11:                               ;   in Loop: Header=BB26_10 Depth=2
	s_load_b32 s42, s[2:3], 0x8
	v_mov_b32_e32 v14, v6
	s_mul_i32 s43, s41, s5
	s_mov_b32 s45, s15
	s_waitcnt lgkmcnt(0)
	s_mul_i32 s44, s36, s42
	s_branch .LBB26_14
.LBB26_12:                              ;   in Loop: Header=BB26_14 Depth=3
	s_set_inst_prefetch_distance 0x2
	s_or_b32 exec_lo, exec_lo, s47
.LBB26_13:                              ;   in Loop: Header=BB26_14 Depth=3
	s_delay_alu instid0(SALU_CYCLE_1)
	s_or_b32 exec_lo, exec_lo, s46
	s_add_i32 s46, s45, s43
	v_cmp_o_f32_e32 vcc_lo, v15, v15
	v_mad_u64_u32 v[7:8], null, s12, s46, v[2:3]
	v_bfe_u32 v8, v15, 16, 1
	v_add_nc_u32_e32 v14, s44, v14
	s_add_i32 s45, s42, s45
	s_delay_alu instid0(SALU_CYCLE_1) | instskip(NEXT) | instid1(VALU_DEP_2)
	s_cmp_ge_i32 s45, s5
	v_add3_u32 v16, v15, v8, 0x7fff
	s_delay_alu instid0(VALU_DEP_4) | instskip(NEXT) | instid1(VALU_DEP_2)
	v_ashrrev_i32_e32 v8, 31, v7
	v_lshrrev_b32_e32 v16, 16, v16
	s_delay_alu instid0(VALU_DEP_2) | instskip(NEXT) | instid1(VALU_DEP_2)
	v_lshlrev_b64 v[7:8], 1, v[7:8]
	v_cndmask_b32_e32 v15, 0x7fc0, v16, vcc_lo
	s_delay_alu instid0(VALU_DEP_2) | instskip(NEXT) | instid1(VALU_DEP_3)
	v_add_co_u32 v7, vcc_lo, s10, v7
	v_add_co_ci_u32_e32 v8, vcc_lo, s11, v8, vcc_lo
	global_store_b16 v[7:8], v15, off
	s_cbranch_scc1 .LBB26_9
.LBB26_14:                              ;   Parent Loop BB26_3 Depth=1
                                        ;     Parent Loop BB26_10 Depth=2
                                        ; =>    This Loop Header: Depth=3
                                        ;         Child Loop BB26_18 Depth 4
                                        ;           Child Loop BB26_21 Depth 5
	v_mov_b32_e32 v15, 0
	s_and_saveexec_b32 s46, s0
	s_cbranch_execz .LBB26_13
; %bb.15:                               ;   in Loop: Header=BB26_14 Depth=3
	v_dual_mov_b32 v15, 0 :: v_dual_mov_b32 v16, v14
	v_mov_b32_e32 v17, v11
	s_mov_b32 s47, 0
	s_set_inst_prefetch_distance 0x1
	s_branch .LBB26_18
	.p2align	6
.LBB26_16:                              ;   in Loop: Header=BB26_18 Depth=4
	s_or_b32 exec_lo, exec_lo, s49
.LBB26_17:                              ;   in Loop: Header=BB26_18 Depth=4
	s_delay_alu instid0(SALU_CYCLE_1) | instskip(SKIP_2) | instid1(VALU_DEP_2)
	s_or_b32 exec_lo, exec_lo, s48
	v_add_nc_u32_e32 v17, 1, v17
	v_add_nc_u32_e32 v16, s9, v16
	v_cmp_ge_i32_e32 vcc_lo, v17, v12
	s_or_b32 s47, vcc_lo, s47
	s_delay_alu instid0(SALU_CYCLE_1)
	s_and_not1_b32 exec_lo, exec_lo, s47
	s_cbranch_execz .LBB26_12
.LBB26_18:                              ;   Parent Loop BB26_3 Depth=1
                                        ;     Parent Loop BB26_10 Depth=2
                                        ;       Parent Loop BB26_14 Depth=3
                                        ; =>      This Loop Header: Depth=4
                                        ;           Child Loop BB26_21 Depth 5
	s_and_saveexec_b32 s48, s1
	s_cbranch_execz .LBB26_17
; %bb.19:                               ;   in Loop: Header=BB26_18 Depth=4
	v_mov_b32_e32 v7, v16
	v_mov_b32_e32 v18, v0
	s_mov_b32 s49, 0
	s_branch .LBB26_21
	.p2align	6
.LBB26_20:                              ;   in Loop: Header=BB26_21 Depth=5
	s_or_b32 exec_lo, exec_lo, s50
	v_add_nc_u32_e32 v18, 1, v18
	v_add_nc_u32_e32 v7, 1, v7
	s_delay_alu instid0(VALU_DEP_2) | instskip(SKIP_1) | instid1(SALU_CYCLE_1)
	v_cmp_ge_i32_e32 vcc_lo, v18, v13
	s_or_b32 s49, vcc_lo, s49
	s_and_not1_b32 exec_lo, exec_lo, s49
	s_cbranch_execz .LBB26_16
.LBB26_21:                              ;   Parent Loop BB26_3 Depth=1
                                        ;     Parent Loop BB26_10 Depth=2
                                        ;       Parent Loop BB26_14 Depth=3
                                        ;         Parent Loop BB26_18 Depth=4
                                        ; =>        This Inner Loop Header: Depth=5
	s_delay_alu instid0(VALU_DEP_2) | instskip(SKIP_1) | instid1(VALU_DEP_1)
	v_ashrrev_i32_e32 v8, 31, v7
	s_mov_b32 s50, exec_lo
	v_lshlrev_b64 v[19:20], 3, v[7:8]
	s_delay_alu instid0(VALU_DEP_1) | instskip(NEXT) | instid1(VALU_DEP_2)
	v_add_co_u32 v19, vcc_lo, s22, v19
	v_add_co_ci_u32_e32 v20, vcc_lo, s23, v20, vcc_lo
	global_load_b64 v[19:20], v[19:20], off
	s_waitcnt vmcnt(0)
	v_cmpx_eq_u64_e64 v[19:20], v[4:5]
	s_cbranch_execz .LBB26_20
; %bb.22:                               ;   in Loop: Header=BB26_21 Depth=5
	v_lshlrev_b64 v[19:20], 1, v[7:8]
	s_delay_alu instid0(VALU_DEP_1) | instskip(NEXT) | instid1(VALU_DEP_2)
	v_add_co_u32 v19, vcc_lo, s20, v19
	v_add_co_ci_u32_e32 v20, vcc_lo, s21, v20, vcc_lo
	global_load_u16 v8, v[19:20], off
	s_waitcnt vmcnt(0)
	v_lshlrev_b32_e32 v8, 16, v8
	s_delay_alu instid0(VALU_DEP_1)
	v_add_f32_e32 v15, v15, v8
	s_branch .LBB26_20
.LBB26_23:
	s_nop 0
	s_sendmsg sendmsg(MSG_DEALLOC_VGPRS)
	s_endpgm
	.section	.rodata,"a",@progbits
	.p2align	6, 0x0
	.amdhsa_kernel _ZN2at6native12_GLOBAL__N_122max_pool_backward_nchwIN3c108BFloat16EfiEEvPKT_PKlT1_SA_SA_SA_SA_SA_iiiiiiiiPS5_
		.amdhsa_group_segment_fixed_size 0
		.amdhsa_private_segment_fixed_size 0
		.amdhsa_kernarg_size 336
		.amdhsa_user_sgpr_count 13
		.amdhsa_user_sgpr_dispatch_ptr 0
		.amdhsa_user_sgpr_queue_ptr 0
		.amdhsa_user_sgpr_kernarg_segment_ptr 1
		.amdhsa_user_sgpr_dispatch_id 0
		.amdhsa_user_sgpr_private_segment_size 0
		.amdhsa_wavefront_size32 1
		.amdhsa_uses_dynamic_stack 0
		.amdhsa_enable_private_segment 0
		.amdhsa_system_sgpr_workgroup_id_x 1
		.amdhsa_system_sgpr_workgroup_id_y 1
		.amdhsa_system_sgpr_workgroup_id_z 1
		.amdhsa_system_sgpr_workgroup_info 0
		.amdhsa_system_vgpr_workitem_id 0
		.amdhsa_next_free_vgpr 21
		.amdhsa_next_free_sgpr 51
		.amdhsa_reserve_vcc 1
		.amdhsa_float_round_mode_32 0
		.amdhsa_float_round_mode_16_64 0
		.amdhsa_float_denorm_mode_32 3
		.amdhsa_float_denorm_mode_16_64 3
		.amdhsa_dx10_clamp 1
		.amdhsa_ieee_mode 1
		.amdhsa_fp16_overflow 0
		.amdhsa_workgroup_processor_mode 1
		.amdhsa_memory_ordered 1
		.amdhsa_forward_progress 0
		.amdhsa_shared_vgpr_count 0
		.amdhsa_exception_fp_ieee_invalid_op 0
		.amdhsa_exception_fp_denorm_src 0
		.amdhsa_exception_fp_ieee_div_zero 0
		.amdhsa_exception_fp_ieee_overflow 0
		.amdhsa_exception_fp_ieee_underflow 0
		.amdhsa_exception_fp_ieee_inexact 0
		.amdhsa_exception_int_div_zero 0
	.end_amdhsa_kernel
	.section	.text._ZN2at6native12_GLOBAL__N_122max_pool_backward_nchwIN3c108BFloat16EfiEEvPKT_PKlT1_SA_SA_SA_SA_SA_iiiiiiiiPS5_,"axG",@progbits,_ZN2at6native12_GLOBAL__N_122max_pool_backward_nchwIN3c108BFloat16EfiEEvPKT_PKlT1_SA_SA_SA_SA_SA_iiiiiiiiPS5_,comdat
.Lfunc_end26:
	.size	_ZN2at6native12_GLOBAL__N_122max_pool_backward_nchwIN3c108BFloat16EfiEEvPKT_PKlT1_SA_SA_SA_SA_SA_iiiiiiiiPS5_, .Lfunc_end26-_ZN2at6native12_GLOBAL__N_122max_pool_backward_nchwIN3c108BFloat16EfiEEvPKT_PKlT1_SA_SA_SA_SA_SA_iiiiiiiiPS5_
                                        ; -- End function
	.section	.AMDGPU.csdata,"",@progbits
; Kernel info:
; codeLenInByte = 1580
; NumSgprs: 53
; NumVgprs: 21
; ScratchSize: 0
; MemoryBound: 0
; FloatMode: 240
; IeeeMode: 1
; LDSByteSize: 0 bytes/workgroup (compile time only)
; SGPRBlocks: 6
; VGPRBlocks: 2
; NumSGPRsForWavesPerEU: 53
; NumVGPRsForWavesPerEU: 21
; Occupancy: 16
; WaveLimiterHint : 0
; COMPUTE_PGM_RSRC2:SCRATCH_EN: 0
; COMPUTE_PGM_RSRC2:USER_SGPR: 13
; COMPUTE_PGM_RSRC2:TRAP_HANDLER: 0
; COMPUTE_PGM_RSRC2:TGID_X_EN: 1
; COMPUTE_PGM_RSRC2:TGID_Y_EN: 1
; COMPUTE_PGM_RSRC2:TGID_Z_EN: 1
; COMPUTE_PGM_RSRC2:TIDIG_COMP_CNT: 0
	.section	.text._ZN2at6native12_GLOBAL__N_122max_pool_backward_nchwIN3c108BFloat16EflEEvPKT_PKlT1_SA_SA_SA_SA_SA_iiiiiiiiPS5_,"axG",@progbits,_ZN2at6native12_GLOBAL__N_122max_pool_backward_nchwIN3c108BFloat16EflEEvPKT_PKlT1_SA_SA_SA_SA_SA_iiiiiiiiPS5_,comdat
	.globl	_ZN2at6native12_GLOBAL__N_122max_pool_backward_nchwIN3c108BFloat16EflEEvPKT_PKlT1_SA_SA_SA_SA_SA_iiiiiiiiPS5_ ; -- Begin function _ZN2at6native12_GLOBAL__N_122max_pool_backward_nchwIN3c108BFloat16EflEEvPKT_PKlT1_SA_SA_SA_SA_SA_iiiiiiiiPS5_
	.p2align	8
	.type	_ZN2at6native12_GLOBAL__N_122max_pool_backward_nchwIN3c108BFloat16EflEEvPKT_PKlT1_SA_SA_SA_SA_SA_iiiiiiiiPS5_,@function
_ZN2at6native12_GLOBAL__N_122max_pool_backward_nchwIN3c108BFloat16EflEEvPKT_PKlT1_SA_SA_SA_SA_SA_iiiiiiiiPS5_: ; @_ZN2at6native12_GLOBAL__N_122max_pool_backward_nchwIN3c108BFloat16EflEEvPKT_PKlT1_SA_SA_SA_SA_SA_iiiiiiiiPS5_
; %bb.0:
	s_clause 0x1
	s_load_b32 s2, s[0:1], 0x74
	s_load_b512 s[16:31], s[0:1], 0x0
	v_mov_b32_e32 v2, 0
	s_add_u32 s34, s0, 0x68
	s_addc_u32 s35, s1, 0
	s_delay_alu instid0(VALU_DEP_1) | instskip(SKIP_3) | instid1(VALU_DEP_1)
	v_mov_b32_e32 v1, v2
	s_waitcnt lgkmcnt(0)
	s_and_b32 s2, s2, 0xffff
	s_mul_i32 s3, s26, s25
	v_mad_u64_u32 v[4:5], null, s2, s13, v[0:1]
	s_mul_hi_u32 s4, s26, s24
	s_delay_alu instid0(SALU_CYCLE_1) | instskip(SKIP_4) | instid1(VALU_DEP_1)
	s_add_i32 s3, s4, s3
	s_mul_i32 s4, s27, s24
	s_mul_i32 s24, s26, s24
	s_add_i32 s25, s3, s4
	s_mov_b32 s3, exec_lo
	v_cmpx_gt_i64_e64 s[24:25], v[4:5]
	s_cbranch_execz .LBB27_43
; %bb.1:
	s_clause 0x1
	s_load_b256 s[4:11], s[0:1], 0x40
	s_load_b64 s[36:37], s[0:1], 0x60
	s_load_b32 s0, s[34:35], 0x0
	s_mul_i32 s1, s23, s14
	s_mul_hi_u32 s3, s22, s14
	v_cvt_f32_u32_e32 v0, s26
	s_add_i32 s3, s3, s1
	s_mov_b32 s12, s15
	s_mul_i32 s38, s22, s14
	s_mov_b32 s15, 0
	v_rcp_iflag_f32_e32 v0, v0
	s_mov_b32 s13, s15
	v_cmp_lt_i64_e64 s33, s[14:15], s[20:21]
	v_cmp_lt_i64_e64 s50, s[12:13], s[22:23]
	s_mov_b32 s62, s15
	s_waitcnt_depctr 0xfff
	v_mul_f32_e32 v0, 0x4f7ffffe, v0
	s_waitcnt lgkmcnt(0)
	s_add_i32 s1, s4, -1
	s_add_i32 s4, s5, -1
	s_mul_i32 s1, s1, s10
	s_mul_i32 s5, s4, s11
	s_ashr_i32 s53, s6, 31
	s_mov_b32 s54, s6
	s_add_i32 s4, s1, 1
	s_add_i32 s6, s5, 1
	s_ashr_i32 s51, s8, 31
	s_ashr_i32 s55, s9, 31
	;; [unrolled: 1-line block ×3, first 2 shown]
	s_mov_b32 s58, s7
	s_ashr_i32 s5, s4, 31
	s_ashr_i32 s7, s6, 31
	s_mov_b32 s52, s8
	s_add_u32 s8, s38, s12
	s_addc_u32 s1, s3, 0
	s_mul_hi_u32 s3, s28, s8
	s_mul_i32 s1, s28, s1
	s_mul_i32 s59, s0, s2
	s_add_i32 s0, s3, s1
	s_mul_i32 s1, s29, s8
	s_mul_i32 s2, s30, s29
	s_mul_hi_u32 s3, s30, s28
	s_add_i32 s60, s0, s1
	s_add_i32 s1, s3, s2
	s_mul_i32 s0, s30, s28
	s_mul_i32 s2, s31, s28
	s_mov_b32 s56, s9
	s_mul_i32 s3, s0, s23
	s_mul_hi_u32 s9, s0, s22
	s_add_i32 s1, s1, s2
	s_add_i32 s2, s9, s3
	s_mul_i32 s3, s1, s22
	v_cvt_u32_f32_e32 v32, v0
	s_add_i32 s3, s2, s3
	s_mul_i32 s2, s0, s22
	s_mul_i32 s61, s28, s8
	s_lshl_b64 s[8:9], s[2:3], 3
	s_lshl_b64 s[10:11], s[0:1], 3
	;; [unrolled: 1-line block ×6, first 2 shown]
	s_branch .LBB27_3
.LBB27_2:                               ;   in Loop: Header=BB27_3 Depth=1
	v_add_co_u32 v4, vcc_lo, v4, s59
	v_add_co_ci_u32_e32 v5, vcc_lo, 0, v5, vcc_lo
	s_delay_alu instid0(VALU_DEP_1) | instskip(SKIP_1) | instid1(SALU_CYCLE_1)
	v_cmp_le_i64_e32 vcc_lo, s[24:25], v[4:5]
	s_or_b32 s62, vcc_lo, s62
	s_and_not1_b32 exec_lo, exec_lo, s62
	s_cbranch_execz .LBB27_43
.LBB27_3:                               ; =>This Loop Header: Depth=1
                                        ;     Child Loop BB27_30 Depth 2
                                        ;       Child Loop BB27_34 Depth 3
                                        ;         Child Loop BB27_38 Depth 4
                                        ;           Child Loop BB27_41 Depth 5
	v_or_b32_e32 v3, s27, v5
                                        ; implicit-def: $vgpr6_vgpr7
	s_mov_b32 s0, exec_lo
	s_delay_alu instid0(VALU_DEP_1)
	v_cmpx_ne_u64_e32 0, v[2:3]
	s_xor_b32 s1, exec_lo, s0
	s_cbranch_execz .LBB27_5
; %bb.4:                                ;   in Loop: Header=BB27_3 Depth=1
	s_ashr_i32 s2, s27, 31
	s_delay_alu instid0(SALU_CYCLE_1) | instskip(SKIP_2) | instid1(SALU_CYCLE_1)
	s_add_u32 s46, s26, s2
	s_mov_b32 s3, s2
	s_addc_u32 s47, s27, s2
	s_xor_b64 s[46:47], s[46:47], s[2:3]
	s_delay_alu instid0(SALU_CYCLE_1) | instskip(SKIP_3) | instid1(VALU_DEP_1)
	v_cvt_f32_u32_e32 v0, s46
	v_cvt_f32_u32_e32 v1, s47
	s_sub_u32 s0, 0, s46
	s_subb_u32 s3, 0, s47
	v_fmac_f32_e32 v0, 0x4f800000, v1
	s_delay_alu instid0(VALU_DEP_1) | instskip(SKIP_2) | instid1(VALU_DEP_1)
	v_rcp_f32_e32 v0, v0
	s_waitcnt_depctr 0xfff
	v_mul_f32_e32 v0, 0x5f7ffffc, v0
	v_mul_f32_e32 v1, 0x2f800000, v0
	s_delay_alu instid0(VALU_DEP_1) | instskip(NEXT) | instid1(VALU_DEP_1)
	v_trunc_f32_e32 v1, v1
	v_fmac_f32_e32 v0, 0xcf800000, v1
	v_cvt_u32_f32_e32 v1, v1
	s_delay_alu instid0(VALU_DEP_2) | instskip(NEXT) | instid1(VALU_DEP_2)
	v_cvt_u32_f32_e32 v0, v0
	v_mul_lo_u32 v3, s0, v1
	s_delay_alu instid0(VALU_DEP_2) | instskip(SKIP_1) | instid1(VALU_DEP_2)
	v_mul_hi_u32 v6, s0, v0
	v_mul_lo_u32 v7, s3, v0
	v_add_nc_u32_e32 v3, v6, v3
	v_mul_lo_u32 v6, s0, v0
	s_delay_alu instid0(VALU_DEP_2) | instskip(NEXT) | instid1(VALU_DEP_2)
	v_add_nc_u32_e32 v3, v3, v7
	v_mul_hi_u32 v7, v0, v6
	s_delay_alu instid0(VALU_DEP_2)
	v_mul_lo_u32 v8, v0, v3
	v_mul_hi_u32 v9, v0, v3
	v_mul_hi_u32 v10, v1, v6
	v_mul_lo_u32 v6, v1, v6
	v_mul_hi_u32 v11, v1, v3
	v_mul_lo_u32 v3, v1, v3
	v_add_co_u32 v7, vcc_lo, v7, v8
	v_add_co_ci_u32_e32 v8, vcc_lo, 0, v9, vcc_lo
	s_delay_alu instid0(VALU_DEP_2) | instskip(NEXT) | instid1(VALU_DEP_2)
	v_add_co_u32 v6, vcc_lo, v7, v6
	v_add_co_ci_u32_e32 v6, vcc_lo, v8, v10, vcc_lo
	v_add_co_ci_u32_e32 v7, vcc_lo, 0, v11, vcc_lo
	v_ashrrev_i32_e32 v10, 31, v5
	s_delay_alu instid0(VALU_DEP_3) | instskip(NEXT) | instid1(VALU_DEP_3)
	v_add_co_u32 v3, vcc_lo, v6, v3
	v_add_co_ci_u32_e32 v6, vcc_lo, 0, v7, vcc_lo
	s_delay_alu instid0(VALU_DEP_2) | instskip(NEXT) | instid1(VALU_DEP_2)
	v_add_co_u32 v0, vcc_lo, v0, v3
	v_add_co_ci_u32_e32 v1, vcc_lo, v1, v6, vcc_lo
	s_delay_alu instid0(VALU_DEP_2) | instskip(SKIP_1) | instid1(VALU_DEP_3)
	v_mul_hi_u32 v3, s0, v0
	v_mul_lo_u32 v7, s3, v0
	v_mul_lo_u32 v6, s0, v1
	s_delay_alu instid0(VALU_DEP_1) | instskip(SKIP_1) | instid1(VALU_DEP_2)
	v_add_nc_u32_e32 v3, v3, v6
	v_mul_lo_u32 v6, s0, v0
	v_add_nc_u32_e32 v3, v3, v7
	s_delay_alu instid0(VALU_DEP_2) | instskip(NEXT) | instid1(VALU_DEP_2)
	v_mul_hi_u32 v7, v0, v6
	v_mul_lo_u32 v8, v0, v3
	v_mul_hi_u32 v9, v0, v3
	v_mul_hi_u32 v11, v1, v6
	v_mul_lo_u32 v6, v1, v6
	v_mul_hi_u32 v12, v1, v3
	v_mul_lo_u32 v3, v1, v3
	v_add_co_u32 v7, vcc_lo, v7, v8
	v_add_co_ci_u32_e32 v8, vcc_lo, 0, v9, vcc_lo
	s_delay_alu instid0(VALU_DEP_2) | instskip(NEXT) | instid1(VALU_DEP_2)
	v_add_co_u32 v6, vcc_lo, v7, v6
	v_add_co_ci_u32_e32 v6, vcc_lo, v8, v11, vcc_lo
	v_add_co_ci_u32_e32 v7, vcc_lo, 0, v12, vcc_lo
	v_add_co_u32 v8, vcc_lo, v4, v10
	v_add_co_ci_u32_e32 v9, vcc_lo, v5, v10, vcc_lo
	s_delay_alu instid0(VALU_DEP_4) | instskip(NEXT) | instid1(VALU_DEP_4)
	v_add_co_u32 v3, vcc_lo, v6, v3
	v_add_co_ci_u32_e32 v6, vcc_lo, 0, v7, vcc_lo
	s_delay_alu instid0(VALU_DEP_4) | instskip(NEXT) | instid1(VALU_DEP_3)
	v_xor_b32_e32 v11, v8, v10
	v_add_co_u32 v3, vcc_lo, v0, v3
	s_delay_alu instid0(VALU_DEP_3) | instskip(SKIP_1) | instid1(VALU_DEP_3)
	v_add_co_ci_u32_e32 v12, vcc_lo, v1, v6, vcc_lo
	v_xor_b32_e32 v13, v9, v10
	v_mul_hi_u32 v14, v11, v3
	s_delay_alu instid0(VALU_DEP_3) | instskip(NEXT) | instid1(VALU_DEP_3)
	v_mad_u64_u32 v[0:1], null, v11, v12, 0
	v_mad_u64_u32 v[6:7], null, v13, v3, 0
	;; [unrolled: 1-line block ×3, first 2 shown]
	s_delay_alu instid0(VALU_DEP_3) | instskip(NEXT) | instid1(VALU_DEP_4)
	v_add_co_u32 v0, vcc_lo, v14, v0
	v_add_co_ci_u32_e32 v1, vcc_lo, 0, v1, vcc_lo
	s_delay_alu instid0(VALU_DEP_2) | instskip(NEXT) | instid1(VALU_DEP_2)
	v_add_co_u32 v0, vcc_lo, v0, v6
	v_add_co_ci_u32_e32 v0, vcc_lo, v1, v7, vcc_lo
	v_add_co_ci_u32_e32 v1, vcc_lo, 0, v9, vcc_lo
	s_delay_alu instid0(VALU_DEP_2) | instskip(NEXT) | instid1(VALU_DEP_2)
	v_add_co_u32 v3, vcc_lo, v0, v8
	v_add_co_ci_u32_e32 v6, vcc_lo, 0, v1, vcc_lo
	s_delay_alu instid0(VALU_DEP_2) | instskip(SKIP_1) | instid1(VALU_DEP_3)
	v_mul_lo_u32 v7, s47, v3
	v_mad_u64_u32 v[0:1], null, s46, v3, 0
	v_mul_lo_u32 v8, s46, v6
	s_delay_alu instid0(VALU_DEP_2) | instskip(NEXT) | instid1(VALU_DEP_2)
	v_sub_co_u32 v0, vcc_lo, v11, v0
	v_add3_u32 v1, v1, v8, v7
	s_delay_alu instid0(VALU_DEP_1) | instskip(NEXT) | instid1(VALU_DEP_1)
	v_sub_nc_u32_e32 v7, v13, v1
	v_subrev_co_ci_u32_e64 v7, s0, s47, v7, vcc_lo
	v_add_co_u32 v8, s0, v3, 2
	s_delay_alu instid0(VALU_DEP_1) | instskip(SKIP_3) | instid1(VALU_DEP_3)
	v_add_co_ci_u32_e64 v9, s0, 0, v6, s0
	v_sub_co_u32 v11, s0, v0, s46
	v_sub_co_ci_u32_e32 v1, vcc_lo, v13, v1, vcc_lo
	v_subrev_co_ci_u32_e64 v7, s0, 0, v7, s0
	v_cmp_le_u32_e32 vcc_lo, s46, v11
	s_delay_alu instid0(VALU_DEP_3) | instskip(SKIP_1) | instid1(VALU_DEP_4)
	v_cmp_eq_u32_e64 s0, s47, v1
	v_cndmask_b32_e64 v11, 0, -1, vcc_lo
	v_cmp_le_u32_e32 vcc_lo, s47, v7
	v_cndmask_b32_e64 v12, 0, -1, vcc_lo
	v_cmp_le_u32_e32 vcc_lo, s46, v0
	;; [unrolled: 2-line block ×3, first 2 shown]
	v_cndmask_b32_e64 v13, 0, -1, vcc_lo
	v_cmp_eq_u32_e32 vcc_lo, s47, v7
	s_delay_alu instid0(VALU_DEP_2) | instskip(SKIP_3) | instid1(VALU_DEP_3)
	v_cndmask_b32_e64 v0, v13, v0, s0
	v_cndmask_b32_e32 v7, v12, v11, vcc_lo
	v_add_co_u32 v11, vcc_lo, v3, 1
	v_add_co_ci_u32_e32 v12, vcc_lo, 0, v6, vcc_lo
	v_cmp_ne_u32_e32 vcc_lo, 0, v7
	s_delay_alu instid0(VALU_DEP_2) | instskip(NEXT) | instid1(VALU_DEP_4)
	v_cndmask_b32_e32 v1, v12, v9, vcc_lo
	v_cndmask_b32_e32 v7, v11, v8, vcc_lo
	v_cmp_ne_u32_e32 vcc_lo, 0, v0
	v_xor_b32_e32 v0, s2, v10
	s_delay_alu instid0(VALU_DEP_3) | instskip(SKIP_1) | instid1(VALU_DEP_2)
	v_cndmask_b32_e32 v3, v3, v7, vcc_lo
	v_cndmask_b32_e32 v1, v6, v1, vcc_lo
	v_xor_b32_e32 v3, v3, v0
	s_delay_alu instid0(VALU_DEP_2) | instskip(NEXT) | instid1(VALU_DEP_2)
	v_xor_b32_e32 v1, v1, v0
	v_sub_co_u32 v6, vcc_lo, v3, v0
	s_delay_alu instid0(VALU_DEP_2)
	v_sub_co_ci_u32_e32 v7, vcc_lo, v1, v0, vcc_lo
.LBB27_5:                               ;   in Loop: Header=BB27_3 Depth=1
	s_and_not1_saveexec_b32 s0, s1
	s_cbranch_execz .LBB27_7
; %bb.6:                                ;   in Loop: Header=BB27_3 Depth=1
	s_sub_i32 s1, 0, s26
	v_mov_b32_e32 v7, v2
	v_mul_lo_u32 v0, s1, v32
	s_delay_alu instid0(VALU_DEP_1) | instskip(NEXT) | instid1(VALU_DEP_1)
	v_mul_hi_u32 v0, v32, v0
	v_add_nc_u32_e32 v0, v32, v0
	s_delay_alu instid0(VALU_DEP_1) | instskip(NEXT) | instid1(VALU_DEP_1)
	v_mul_hi_u32 v0, v4, v0
	v_mul_lo_u32 v1, v0, s26
	v_add_nc_u32_e32 v3, 1, v0
	s_delay_alu instid0(VALU_DEP_2) | instskip(NEXT) | instid1(VALU_DEP_1)
	v_sub_nc_u32_e32 v1, v4, v1
	v_subrev_nc_u32_e32 v6, s26, v1
	v_cmp_le_u32_e32 vcc_lo, s26, v1
	s_delay_alu instid0(VALU_DEP_2) | instskip(NEXT) | instid1(VALU_DEP_1)
	v_dual_cndmask_b32 v1, v1, v6 :: v_dual_cndmask_b32 v0, v0, v3
	v_cmp_le_u32_e32 vcc_lo, s26, v1
	s_delay_alu instid0(VALU_DEP_2) | instskip(NEXT) | instid1(VALU_DEP_1)
	v_add_nc_u32_e32 v3, 1, v0
	v_cndmask_b32_e32 v6, v0, v3, vcc_lo
.LBB27_7:                               ;   in Loop: Header=BB27_3 Depth=1
	s_or_b32 exec_lo, exec_lo, s0
	s_delay_alu instid0(VALU_DEP_1) | instskip(SKIP_4) | instid1(VALU_DEP_2)
	v_add_co_u32 v10, vcc_lo, v6, s52
	v_mov_b32_e32 v0, 0
	v_add_co_ci_u32_e32 v11, vcc_lo, s51, v7, vcc_lo
	v_mov_b32_e32 v1, 0
	s_mov_b32 s1, exec_lo
	v_cmpx_le_i64_e64 s[4:5], v[10:11]
	s_cbranch_execz .LBB27_13
; %bb.8:                                ;   in Loop: Header=BB27_3 Depth=1
	v_sub_co_u32 v8, vcc_lo, v10, s4
	v_subrev_co_ci_u32_e32 v9, vcc_lo, s5, v11, vcc_lo
                                        ; implicit-def: $vgpr0_vgpr1
	s_mov_b32 s0, exec_lo
	s_delay_alu instid0(VALU_DEP_1) | instskip(NEXT) | instid1(VALU_DEP_1)
	v_or_b32_e32 v3, s53, v9
	v_cmpx_ne_u64_e32 0, v[2:3]
	s_xor_b32 s48, exec_lo, s0
	s_cbranch_execz .LBB27_10
; %bb.9:                                ;   in Loop: Header=BB27_3 Depth=1
	s_add_u32 s46, s54, s53
	s_mov_b32 s2, s53
	s_mov_b32 s3, s53
	s_addc_u32 s47, s53, s53
	s_delay_alu instid0(SALU_CYCLE_1) | instskip(NEXT) | instid1(SALU_CYCLE_1)
	s_xor_b64 s[46:47], s[46:47], s[2:3]
	v_cvt_f32_u32_e32 v0, s46
	v_cvt_f32_u32_e32 v1, s47
	s_sub_u32 s0, 0, s46
	s_subb_u32 s49, 0, s47
	s_delay_alu instid0(VALU_DEP_1) | instskip(NEXT) | instid1(VALU_DEP_1)
	v_fmac_f32_e32 v0, 0x4f800000, v1
	v_rcp_f32_e32 v0, v0
	s_waitcnt_depctr 0xfff
	v_mul_f32_e32 v0, 0x5f7ffffc, v0
	s_delay_alu instid0(VALU_DEP_1) | instskip(NEXT) | instid1(VALU_DEP_1)
	v_mul_f32_e32 v1, 0x2f800000, v0
	v_trunc_f32_e32 v1, v1
	s_delay_alu instid0(VALU_DEP_1) | instskip(SKIP_1) | instid1(VALU_DEP_2)
	v_fmac_f32_e32 v0, 0xcf800000, v1
	v_cvt_u32_f32_e32 v1, v1
	v_cvt_u32_f32_e32 v0, v0
	s_delay_alu instid0(VALU_DEP_2) | instskip(NEXT) | instid1(VALU_DEP_2)
	v_mul_lo_u32 v3, s0, v1
	v_mul_hi_u32 v12, s0, v0
	v_mul_lo_u32 v13, s49, v0
	s_delay_alu instid0(VALU_DEP_2) | instskip(SKIP_1) | instid1(VALU_DEP_2)
	v_add_nc_u32_e32 v3, v12, v3
	v_mul_lo_u32 v12, s0, v0
	v_add_nc_u32_e32 v3, v3, v13
	s_delay_alu instid0(VALU_DEP_2) | instskip(NEXT) | instid1(VALU_DEP_2)
	v_mul_hi_u32 v13, v0, v12
	v_mul_lo_u32 v14, v0, v3
	v_mul_hi_u32 v15, v0, v3
	v_mul_hi_u32 v16, v1, v12
	v_mul_lo_u32 v12, v1, v12
	v_mul_hi_u32 v17, v1, v3
	v_mul_lo_u32 v3, v1, v3
	v_add_co_u32 v13, vcc_lo, v13, v14
	v_add_co_ci_u32_e32 v14, vcc_lo, 0, v15, vcc_lo
	s_delay_alu instid0(VALU_DEP_2) | instskip(NEXT) | instid1(VALU_DEP_2)
	v_add_co_u32 v12, vcc_lo, v13, v12
	v_add_co_ci_u32_e32 v12, vcc_lo, v14, v16, vcc_lo
	v_add_co_ci_u32_e32 v13, vcc_lo, 0, v17, vcc_lo
	v_ashrrev_i32_e32 v16, 31, v9
	s_delay_alu instid0(VALU_DEP_3) | instskip(NEXT) | instid1(VALU_DEP_3)
	v_add_co_u32 v3, vcc_lo, v12, v3
	v_add_co_ci_u32_e32 v12, vcc_lo, 0, v13, vcc_lo
	s_delay_alu instid0(VALU_DEP_2) | instskip(NEXT) | instid1(VALU_DEP_2)
	v_add_co_u32 v0, vcc_lo, v0, v3
	v_add_co_ci_u32_e32 v1, vcc_lo, v1, v12, vcc_lo
	s_delay_alu instid0(VALU_DEP_2) | instskip(SKIP_1) | instid1(VALU_DEP_3)
	v_mul_hi_u32 v3, s0, v0
	v_mul_lo_u32 v13, s49, v0
	v_mul_lo_u32 v12, s0, v1
	s_delay_alu instid0(VALU_DEP_1) | instskip(SKIP_1) | instid1(VALU_DEP_2)
	v_add_nc_u32_e32 v3, v3, v12
	v_mul_lo_u32 v12, s0, v0
	v_add_nc_u32_e32 v3, v3, v13
	s_delay_alu instid0(VALU_DEP_2) | instskip(NEXT) | instid1(VALU_DEP_2)
	v_mul_hi_u32 v13, v0, v12
	v_mul_lo_u32 v14, v0, v3
	v_mul_hi_u32 v15, v0, v3
	v_mul_hi_u32 v17, v1, v12
	v_mul_lo_u32 v12, v1, v12
	v_mul_hi_u32 v18, v1, v3
	v_mul_lo_u32 v3, v1, v3
	v_add_co_u32 v13, vcc_lo, v13, v14
	v_add_co_ci_u32_e32 v14, vcc_lo, 0, v15, vcc_lo
	s_delay_alu instid0(VALU_DEP_2) | instskip(NEXT) | instid1(VALU_DEP_2)
	v_add_co_u32 v12, vcc_lo, v13, v12
	v_add_co_ci_u32_e32 v12, vcc_lo, v14, v17, vcc_lo
	v_add_co_ci_u32_e32 v13, vcc_lo, 0, v18, vcc_lo
	v_add_co_u32 v8, vcc_lo, v8, v16
	v_add_co_ci_u32_e32 v9, vcc_lo, v9, v16, vcc_lo
	s_delay_alu instid0(VALU_DEP_4) | instskip(NEXT) | instid1(VALU_DEP_4)
	v_add_co_u32 v3, vcc_lo, v12, v3
	v_add_co_ci_u32_e32 v12, vcc_lo, 0, v13, vcc_lo
	s_delay_alu instid0(VALU_DEP_4) | instskip(NEXT) | instid1(VALU_DEP_3)
	v_xor_b32_e32 v14, v8, v16
	v_add_co_u32 v3, vcc_lo, v0, v3
	s_delay_alu instid0(VALU_DEP_3) | instskip(SKIP_1) | instid1(VALU_DEP_3)
	v_add_co_ci_u32_e32 v15, vcc_lo, v1, v12, vcc_lo
	v_xor_b32_e32 v17, v9, v16
	v_mul_hi_u32 v18, v14, v3
	s_delay_alu instid0(VALU_DEP_3) | instskip(NEXT) | instid1(VALU_DEP_3)
	v_mad_u64_u32 v[0:1], null, v14, v15, 0
	v_mad_u64_u32 v[8:9], null, v17, v3, 0
	;; [unrolled: 1-line block ×3, first 2 shown]
	s_delay_alu instid0(VALU_DEP_3) | instskip(NEXT) | instid1(VALU_DEP_4)
	v_add_co_u32 v0, vcc_lo, v18, v0
	v_add_co_ci_u32_e32 v1, vcc_lo, 0, v1, vcc_lo
	s_delay_alu instid0(VALU_DEP_2) | instskip(NEXT) | instid1(VALU_DEP_2)
	v_add_co_u32 v0, vcc_lo, v0, v8
	v_add_co_ci_u32_e32 v0, vcc_lo, v1, v9, vcc_lo
	v_add_co_ci_u32_e32 v1, vcc_lo, 0, v13, vcc_lo
	s_delay_alu instid0(VALU_DEP_2) | instskip(NEXT) | instid1(VALU_DEP_2)
	v_add_co_u32 v3, vcc_lo, v0, v12
	v_add_co_ci_u32_e32 v8, vcc_lo, 0, v1, vcc_lo
	s_delay_alu instid0(VALU_DEP_2) | instskip(SKIP_1) | instid1(VALU_DEP_3)
	v_mul_lo_u32 v9, s47, v3
	v_mad_u64_u32 v[0:1], null, s46, v3, 0
	v_mul_lo_u32 v12, s46, v8
	s_delay_alu instid0(VALU_DEP_2) | instskip(NEXT) | instid1(VALU_DEP_2)
	v_sub_co_u32 v0, vcc_lo, v14, v0
	v_add3_u32 v1, v1, v12, v9
	s_delay_alu instid0(VALU_DEP_1) | instskip(NEXT) | instid1(VALU_DEP_1)
	v_sub_nc_u32_e32 v9, v17, v1
	v_subrev_co_ci_u32_e64 v9, s0, s47, v9, vcc_lo
	v_add_co_u32 v12, s0, v3, 2
	s_delay_alu instid0(VALU_DEP_1) | instskip(SKIP_3) | instid1(VALU_DEP_3)
	v_add_co_ci_u32_e64 v13, s0, 0, v8, s0
	v_sub_co_u32 v14, s0, v0, s46
	v_sub_co_ci_u32_e32 v1, vcc_lo, v17, v1, vcc_lo
	v_subrev_co_ci_u32_e64 v9, s0, 0, v9, s0
	v_cmp_le_u32_e32 vcc_lo, s46, v14
	s_delay_alu instid0(VALU_DEP_3) | instskip(SKIP_1) | instid1(VALU_DEP_4)
	v_cmp_eq_u32_e64 s0, s47, v1
	v_cndmask_b32_e64 v14, 0, -1, vcc_lo
	v_cmp_le_u32_e32 vcc_lo, s47, v9
	v_cndmask_b32_e64 v15, 0, -1, vcc_lo
	v_cmp_le_u32_e32 vcc_lo, s46, v0
	;; [unrolled: 2-line block ×3, first 2 shown]
	v_cndmask_b32_e64 v17, 0, -1, vcc_lo
	v_cmp_eq_u32_e32 vcc_lo, s47, v9
	s_delay_alu instid0(VALU_DEP_2) | instskip(SKIP_3) | instid1(VALU_DEP_3)
	v_cndmask_b32_e64 v0, v17, v0, s0
	v_cndmask_b32_e32 v9, v15, v14, vcc_lo
	v_add_co_u32 v14, vcc_lo, v3, 1
	v_add_co_ci_u32_e32 v15, vcc_lo, 0, v8, vcc_lo
	v_cmp_ne_u32_e32 vcc_lo, 0, v9
	s_delay_alu instid0(VALU_DEP_2) | instskip(NEXT) | instid1(VALU_DEP_4)
	v_cndmask_b32_e32 v1, v15, v13, vcc_lo
	v_cndmask_b32_e32 v9, v14, v12, vcc_lo
	v_cmp_ne_u32_e32 vcc_lo, 0, v0
	v_xor_b32_e32 v0, s2, v16
	s_delay_alu instid0(VALU_DEP_3) | instskip(SKIP_2) | instid1(VALU_DEP_3)
	v_cndmask_b32_e32 v3, v3, v9, vcc_lo
	v_cndmask_b32_e32 v1, v8, v1, vcc_lo
	v_xor_b32_e32 v8, s3, v16
	v_xor_b32_e32 v3, v3, v0
	s_delay_alu instid0(VALU_DEP_2) | instskip(NEXT) | instid1(VALU_DEP_2)
	v_xor_b32_e32 v1, v1, v8
	v_sub_co_u32 v0, vcc_lo, v3, v0
	s_delay_alu instid0(VALU_DEP_2)
	v_sub_co_ci_u32_e32 v1, vcc_lo, v1, v8, vcc_lo
                                        ; implicit-def: $vgpr8
.LBB27_10:                              ;   in Loop: Header=BB27_3 Depth=1
	s_and_not1_saveexec_b32 s0, s48
	s_cbranch_execz .LBB27_12
; %bb.11:                               ;   in Loop: Header=BB27_3 Depth=1
	v_cvt_f32_u32_e32 v0, s54
	s_sub_i32 s2, 0, s54
	s_delay_alu instid0(VALU_DEP_1) | instskip(SKIP_2) | instid1(VALU_DEP_1)
	v_rcp_iflag_f32_e32 v0, v0
	s_waitcnt_depctr 0xfff
	v_mul_f32_e32 v0, 0x4f7ffffe, v0
	v_cvt_u32_f32_e32 v0, v0
	s_delay_alu instid0(VALU_DEP_1) | instskip(NEXT) | instid1(VALU_DEP_1)
	v_mul_lo_u32 v1, s2, v0
	v_mul_hi_u32 v1, v0, v1
	s_delay_alu instid0(VALU_DEP_1) | instskip(NEXT) | instid1(VALU_DEP_1)
	v_add_nc_u32_e32 v0, v0, v1
	v_mul_hi_u32 v0, v8, v0
	s_delay_alu instid0(VALU_DEP_1) | instskip(SKIP_1) | instid1(VALU_DEP_2)
	v_mul_lo_u32 v1, v0, s54
	v_add_nc_u32_e32 v3, 1, v0
	v_sub_nc_u32_e32 v1, v8, v1
	s_delay_alu instid0(VALU_DEP_1) | instskip(SKIP_1) | instid1(VALU_DEP_2)
	v_subrev_nc_u32_e32 v8, s54, v1
	v_cmp_le_u32_e32 vcc_lo, s54, v1
	v_dual_cndmask_b32 v1, v1, v8 :: v_dual_cndmask_b32 v0, v0, v3
	s_delay_alu instid0(VALU_DEP_1) | instskip(NEXT) | instid1(VALU_DEP_2)
	v_cmp_le_u32_e32 vcc_lo, s54, v1
	v_add_nc_u32_e32 v3, 1, v0
	s_delay_alu instid0(VALU_DEP_1)
	v_dual_mov_b32 v1, v2 :: v_dual_cndmask_b32 v0, v0, v3
.LBB27_12:                              ;   in Loop: Header=BB27_3 Depth=1
	s_or_b32 exec_lo, exec_lo, s0
	s_delay_alu instid0(VALU_DEP_1) | instskip(NEXT) | instid1(VALU_DEP_2)
	v_add_co_u32 v0, vcc_lo, v0, 1
	v_add_co_ci_u32_e32 v1, vcc_lo, 0, v1, vcc_lo
.LBB27_13:                              ;   in Loop: Header=BB27_3 Depth=1
	s_or_b32 exec_lo, exec_lo, s1
	v_or_b32_e32 v3, s53, v11
                                        ; implicit-def: $vgpr8_vgpr9
	s_mov_b32 s0, exec_lo
	s_delay_alu instid0(VALU_DEP_1)
	v_cmpx_ne_u64_e32 0, v[2:3]
	s_xor_b32 s1, exec_lo, s0
	s_cbranch_execz .LBB27_15
; %bb.14:                               ;   in Loop: Header=BB27_3 Depth=1
	s_add_u32 s46, s54, s53
	s_mov_b32 s2, s53
	s_mov_b32 s3, s53
	s_addc_u32 s47, s53, s53
	s_delay_alu instid0(SALU_CYCLE_1) | instskip(NEXT) | instid1(SALU_CYCLE_1)
	s_xor_b64 s[46:47], s[46:47], s[2:3]
	v_cvt_f32_u32_e32 v3, s46
	v_cvt_f32_u32_e32 v8, s47
	s_sub_u32 s0, 0, s46
	s_subb_u32 s48, 0, s47
	s_delay_alu instid0(VALU_DEP_1) | instskip(NEXT) | instid1(VALU_DEP_1)
	v_fmac_f32_e32 v3, 0x4f800000, v8
	v_rcp_f32_e32 v3, v3
	s_waitcnt_depctr 0xfff
	v_mul_f32_e32 v3, 0x5f7ffffc, v3
	s_delay_alu instid0(VALU_DEP_1) | instskip(NEXT) | instid1(VALU_DEP_1)
	v_mul_f32_e32 v8, 0x2f800000, v3
	v_trunc_f32_e32 v8, v8
	s_delay_alu instid0(VALU_DEP_1) | instskip(SKIP_1) | instid1(VALU_DEP_2)
	v_fmac_f32_e32 v3, 0xcf800000, v8
	v_cvt_u32_f32_e32 v8, v8
	v_cvt_u32_f32_e32 v3, v3
	s_delay_alu instid0(VALU_DEP_2) | instskip(NEXT) | instid1(VALU_DEP_2)
	v_mul_lo_u32 v9, s0, v8
	v_mul_hi_u32 v12, s0, v3
	v_mul_lo_u32 v13, s48, v3
	s_delay_alu instid0(VALU_DEP_2) | instskip(SKIP_1) | instid1(VALU_DEP_2)
	v_add_nc_u32_e32 v9, v12, v9
	v_mul_lo_u32 v12, s0, v3
	v_add_nc_u32_e32 v9, v9, v13
	s_delay_alu instid0(VALU_DEP_2) | instskip(NEXT) | instid1(VALU_DEP_2)
	v_mul_hi_u32 v13, v3, v12
	v_mul_lo_u32 v14, v3, v9
	v_mul_hi_u32 v15, v3, v9
	v_mul_hi_u32 v16, v8, v12
	v_mul_lo_u32 v12, v8, v12
	v_mul_hi_u32 v17, v8, v9
	v_mul_lo_u32 v9, v8, v9
	v_add_co_u32 v13, vcc_lo, v13, v14
	v_add_co_ci_u32_e32 v14, vcc_lo, 0, v15, vcc_lo
	s_delay_alu instid0(VALU_DEP_2) | instskip(NEXT) | instid1(VALU_DEP_2)
	v_add_co_u32 v12, vcc_lo, v13, v12
	v_add_co_ci_u32_e32 v12, vcc_lo, v14, v16, vcc_lo
	v_add_co_ci_u32_e32 v13, vcc_lo, 0, v17, vcc_lo
	v_ashrrev_i32_e32 v16, 31, v11
	s_delay_alu instid0(VALU_DEP_3) | instskip(NEXT) | instid1(VALU_DEP_3)
	v_add_co_u32 v9, vcc_lo, v12, v9
	v_add_co_ci_u32_e32 v12, vcc_lo, 0, v13, vcc_lo
	s_delay_alu instid0(VALU_DEP_2) | instskip(NEXT) | instid1(VALU_DEP_2)
	v_add_co_u32 v3, vcc_lo, v3, v9
	v_add_co_ci_u32_e32 v8, vcc_lo, v8, v12, vcc_lo
	s_delay_alu instid0(VALU_DEP_2) | instskip(SKIP_1) | instid1(VALU_DEP_3)
	v_mul_hi_u32 v9, s0, v3
	v_mul_lo_u32 v13, s48, v3
	v_mul_lo_u32 v12, s0, v8
	s_delay_alu instid0(VALU_DEP_1) | instskip(SKIP_1) | instid1(VALU_DEP_2)
	v_add_nc_u32_e32 v9, v9, v12
	v_mul_lo_u32 v12, s0, v3
	v_add_nc_u32_e32 v9, v9, v13
	s_delay_alu instid0(VALU_DEP_2) | instskip(NEXT) | instid1(VALU_DEP_2)
	v_mul_hi_u32 v13, v3, v12
	v_mul_lo_u32 v14, v3, v9
	v_mul_hi_u32 v15, v3, v9
	v_mul_hi_u32 v17, v8, v12
	v_mul_lo_u32 v12, v8, v12
	v_mul_hi_u32 v18, v8, v9
	v_mul_lo_u32 v9, v8, v9
	v_add_co_u32 v13, vcc_lo, v13, v14
	v_add_co_ci_u32_e32 v14, vcc_lo, 0, v15, vcc_lo
	s_delay_alu instid0(VALU_DEP_2) | instskip(NEXT) | instid1(VALU_DEP_2)
	v_add_co_u32 v12, vcc_lo, v13, v12
	v_add_co_ci_u32_e32 v12, vcc_lo, v14, v17, vcc_lo
	v_add_co_ci_u32_e32 v13, vcc_lo, 0, v18, vcc_lo
	v_add_co_u32 v10, vcc_lo, v10, v16
	v_add_co_ci_u32_e32 v11, vcc_lo, v11, v16, vcc_lo
	s_delay_alu instid0(VALU_DEP_4) | instskip(NEXT) | instid1(VALU_DEP_4)
	v_add_co_u32 v9, vcc_lo, v12, v9
	v_add_co_ci_u32_e32 v12, vcc_lo, 0, v13, vcc_lo
	s_delay_alu instid0(VALU_DEP_4) | instskip(NEXT) | instid1(VALU_DEP_3)
	v_xor_b32_e32 v14, v10, v16
	v_add_co_u32 v3, vcc_lo, v3, v9
	s_delay_alu instid0(VALU_DEP_3) | instskip(SKIP_1) | instid1(VALU_DEP_3)
	v_add_co_ci_u32_e32 v15, vcc_lo, v8, v12, vcc_lo
	v_xor_b32_e32 v17, v11, v16
	v_mul_hi_u32 v18, v14, v3
	s_delay_alu instid0(VALU_DEP_3) | instskip(NEXT) | instid1(VALU_DEP_3)
	v_mad_u64_u32 v[8:9], null, v14, v15, 0
	v_mad_u64_u32 v[10:11], null, v17, v3, 0
	;; [unrolled: 1-line block ×3, first 2 shown]
	s_delay_alu instid0(VALU_DEP_3) | instskip(NEXT) | instid1(VALU_DEP_4)
	v_add_co_u32 v3, vcc_lo, v18, v8
	v_add_co_ci_u32_e32 v8, vcc_lo, 0, v9, vcc_lo
	s_delay_alu instid0(VALU_DEP_2) | instskip(NEXT) | instid1(VALU_DEP_2)
	v_add_co_u32 v3, vcc_lo, v3, v10
	v_add_co_ci_u32_e32 v3, vcc_lo, v8, v11, vcc_lo
	v_add_co_ci_u32_e32 v8, vcc_lo, 0, v13, vcc_lo
	s_delay_alu instid0(VALU_DEP_2) | instskip(NEXT) | instid1(VALU_DEP_2)
	v_add_co_u32 v3, vcc_lo, v3, v12
	v_add_co_ci_u32_e32 v10, vcc_lo, 0, v8, vcc_lo
	s_delay_alu instid0(VALU_DEP_2) | instskip(SKIP_1) | instid1(VALU_DEP_3)
	v_mul_lo_u32 v11, s47, v3
	v_mad_u64_u32 v[8:9], null, s46, v3, 0
	v_mul_lo_u32 v12, s46, v10
	s_delay_alu instid0(VALU_DEP_2) | instskip(NEXT) | instid1(VALU_DEP_2)
	v_sub_co_u32 v8, vcc_lo, v14, v8
	v_add3_u32 v9, v9, v12, v11
	s_delay_alu instid0(VALU_DEP_1) | instskip(NEXT) | instid1(VALU_DEP_1)
	v_sub_nc_u32_e32 v11, v17, v9
	v_subrev_co_ci_u32_e64 v11, s0, s47, v11, vcc_lo
	v_add_co_u32 v12, s0, v3, 2
	s_delay_alu instid0(VALU_DEP_1) | instskip(SKIP_3) | instid1(VALU_DEP_3)
	v_add_co_ci_u32_e64 v13, s0, 0, v10, s0
	v_sub_co_u32 v14, s0, v8, s46
	v_sub_co_ci_u32_e32 v9, vcc_lo, v17, v9, vcc_lo
	v_subrev_co_ci_u32_e64 v11, s0, 0, v11, s0
	v_cmp_le_u32_e32 vcc_lo, s46, v14
	s_delay_alu instid0(VALU_DEP_3) | instskip(SKIP_1) | instid1(VALU_DEP_4)
	v_cmp_eq_u32_e64 s0, s47, v9
	v_cndmask_b32_e64 v14, 0, -1, vcc_lo
	v_cmp_le_u32_e32 vcc_lo, s47, v11
	v_cndmask_b32_e64 v15, 0, -1, vcc_lo
	v_cmp_le_u32_e32 vcc_lo, s46, v8
	v_cndmask_b32_e64 v8, 0, -1, vcc_lo
	v_cmp_le_u32_e32 vcc_lo, s47, v9
	v_cndmask_b32_e64 v17, 0, -1, vcc_lo
	v_cmp_eq_u32_e32 vcc_lo, s47, v11
	s_delay_alu instid0(VALU_DEP_2) | instskip(SKIP_3) | instid1(VALU_DEP_3)
	v_cndmask_b32_e64 v8, v17, v8, s0
	v_cndmask_b32_e32 v11, v15, v14, vcc_lo
	v_add_co_u32 v14, vcc_lo, v3, 1
	v_add_co_ci_u32_e32 v15, vcc_lo, 0, v10, vcc_lo
	v_cmp_ne_u32_e32 vcc_lo, 0, v11
	s_delay_alu instid0(VALU_DEP_2) | instskip(NEXT) | instid1(VALU_DEP_4)
	v_cndmask_b32_e32 v9, v15, v13, vcc_lo
	v_cndmask_b32_e32 v11, v14, v12, vcc_lo
	v_cmp_ne_u32_e32 vcc_lo, 0, v8
	v_xor_b32_e32 v8, s2, v16
	s_delay_alu instid0(VALU_DEP_3) | instskip(SKIP_2) | instid1(VALU_DEP_3)
	v_cndmask_b32_e32 v3, v3, v11, vcc_lo
	v_cndmask_b32_e32 v9, v10, v9, vcc_lo
	v_xor_b32_e32 v10, s3, v16
	v_xor_b32_e32 v3, v3, v8
	s_delay_alu instid0(VALU_DEP_2) | instskip(NEXT) | instid1(VALU_DEP_2)
	v_xor_b32_e32 v9, v9, v10
	v_sub_co_u32 v8, vcc_lo, v3, v8
	s_delay_alu instid0(VALU_DEP_2)
	v_sub_co_ci_u32_e32 v9, vcc_lo, v9, v10, vcc_lo
                                        ; implicit-def: $vgpr10
.LBB27_15:                              ;   in Loop: Header=BB27_3 Depth=1
	s_and_not1_saveexec_b32 s0, s1
	s_cbranch_execz .LBB27_17
; %bb.16:                               ;   in Loop: Header=BB27_3 Depth=1
	v_cvt_f32_u32_e32 v3, s54
	s_sub_i32 s1, 0, s54
	s_delay_alu instid0(VALU_DEP_1) | instskip(SKIP_2) | instid1(VALU_DEP_1)
	v_rcp_iflag_f32_e32 v3, v3
	s_waitcnt_depctr 0xfff
	v_mul_f32_e32 v3, 0x4f7ffffe, v3
	v_cvt_u32_f32_e32 v3, v3
	s_delay_alu instid0(VALU_DEP_1) | instskip(NEXT) | instid1(VALU_DEP_1)
	v_mul_lo_u32 v8, s1, v3
	v_mul_hi_u32 v8, v3, v8
	s_delay_alu instid0(VALU_DEP_1) | instskip(NEXT) | instid1(VALU_DEP_1)
	v_add_nc_u32_e32 v3, v3, v8
	v_mul_hi_u32 v3, v10, v3
	s_delay_alu instid0(VALU_DEP_1) | instskip(SKIP_1) | instid1(VALU_DEP_2)
	v_mul_lo_u32 v8, v3, s54
	v_add_nc_u32_e32 v9, 1, v3
	v_sub_nc_u32_e32 v8, v10, v8
	s_delay_alu instid0(VALU_DEP_1) | instskip(SKIP_1) | instid1(VALU_DEP_2)
	v_subrev_nc_u32_e32 v10, s54, v8
	v_cmp_le_u32_e32 vcc_lo, s54, v8
	v_dual_cndmask_b32 v8, v8, v10 :: v_dual_cndmask_b32 v3, v3, v9
	s_delay_alu instid0(VALU_DEP_1) | instskip(NEXT) | instid1(VALU_DEP_2)
	v_cmp_le_u32_e32 vcc_lo, s54, v8
	v_add_nc_u32_e32 v9, 1, v3
	s_delay_alu instid0(VALU_DEP_1)
	v_dual_cndmask_b32 v8, v3, v9 :: v_dual_mov_b32 v9, v2
.LBB27_17:                              ;   in Loop: Header=BB27_3 Depth=1
	s_or_b32 exec_lo, exec_lo, s0
	v_mul_lo_u32 v3, v7, s26
	v_mul_lo_u32 v7, v6, s27
	v_mad_u64_u32 v[10:11], null, v6, s26, 0
	s_mov_b32 s1, exec_lo
	s_delay_alu instid0(VALU_DEP_1) | instskip(NEXT) | instid1(VALU_DEP_2)
	v_add3_u32 v3, v11, v7, v3
	v_sub_co_u32 v6, vcc_lo, v4, v10
	s_delay_alu instid0(VALU_DEP_2) | instskip(NEXT) | instid1(VALU_DEP_2)
	v_sub_co_ci_u32_e32 v3, vcc_lo, v5, v3, vcc_lo
	v_add_co_u32 v10, vcc_lo, v6, s56
	v_mov_b32_e32 v6, 0
	s_delay_alu instid0(VALU_DEP_3) | instskip(SKIP_1) | instid1(VALU_DEP_2)
	v_add_co_ci_u32_e32 v11, vcc_lo, s55, v3, vcc_lo
	v_mov_b32_e32 v7, 0
	v_cmpx_le_i64_e64 s[6:7], v[10:11]
	s_cbranch_execz .LBB27_23
; %bb.18:                               ;   in Loop: Header=BB27_3 Depth=1
	v_sub_co_u32 v12, vcc_lo, v10, s6
	v_subrev_co_ci_u32_e32 v13, vcc_lo, s7, v11, vcc_lo
                                        ; implicit-def: $vgpr6_vgpr7
	s_mov_b32 s0, exec_lo
	s_delay_alu instid0(VALU_DEP_1) | instskip(NEXT) | instid1(VALU_DEP_1)
	v_or_b32_e32 v3, s57, v13
	v_cmpx_ne_u64_e32 0, v[2:3]
	s_xor_b32 s48, exec_lo, s0
	s_cbranch_execz .LBB27_20
; %bb.19:                               ;   in Loop: Header=BB27_3 Depth=1
	s_add_u32 s46, s58, s57
	s_mov_b32 s2, s57
	s_mov_b32 s3, s57
	s_addc_u32 s47, s57, s57
	s_delay_alu instid0(SALU_CYCLE_1) | instskip(NEXT) | instid1(SALU_CYCLE_1)
	s_xor_b64 s[46:47], s[46:47], s[2:3]
	v_cvt_f32_u32_e32 v3, s46
	v_cvt_f32_u32_e32 v6, s47
	s_sub_u32 s0, 0, s46
	s_subb_u32 s49, 0, s47
	s_delay_alu instid0(VALU_DEP_1) | instskip(NEXT) | instid1(VALU_DEP_1)
	v_fmac_f32_e32 v3, 0x4f800000, v6
	v_rcp_f32_e32 v3, v3
	s_waitcnt_depctr 0xfff
	v_mul_f32_e32 v3, 0x5f7ffffc, v3
	s_delay_alu instid0(VALU_DEP_1) | instskip(NEXT) | instid1(VALU_DEP_1)
	v_mul_f32_e32 v6, 0x2f800000, v3
	v_trunc_f32_e32 v6, v6
	s_delay_alu instid0(VALU_DEP_1) | instskip(SKIP_1) | instid1(VALU_DEP_2)
	v_fmac_f32_e32 v3, 0xcf800000, v6
	v_cvt_u32_f32_e32 v6, v6
	v_cvt_u32_f32_e32 v3, v3
	s_delay_alu instid0(VALU_DEP_2) | instskip(NEXT) | instid1(VALU_DEP_2)
	v_mul_lo_u32 v7, s0, v6
	v_mul_hi_u32 v14, s0, v3
	v_mul_lo_u32 v15, s49, v3
	s_delay_alu instid0(VALU_DEP_2) | instskip(SKIP_1) | instid1(VALU_DEP_2)
	v_add_nc_u32_e32 v7, v14, v7
	v_mul_lo_u32 v14, s0, v3
	v_add_nc_u32_e32 v7, v7, v15
	s_delay_alu instid0(VALU_DEP_2) | instskip(NEXT) | instid1(VALU_DEP_2)
	v_mul_hi_u32 v15, v3, v14
	v_mul_lo_u32 v16, v3, v7
	v_mul_hi_u32 v17, v3, v7
	v_mul_hi_u32 v18, v6, v14
	v_mul_lo_u32 v14, v6, v14
	v_mul_hi_u32 v19, v6, v7
	v_mul_lo_u32 v7, v6, v7
	v_add_co_u32 v15, vcc_lo, v15, v16
	v_add_co_ci_u32_e32 v16, vcc_lo, 0, v17, vcc_lo
	s_delay_alu instid0(VALU_DEP_2) | instskip(NEXT) | instid1(VALU_DEP_2)
	v_add_co_u32 v14, vcc_lo, v15, v14
	v_add_co_ci_u32_e32 v14, vcc_lo, v16, v18, vcc_lo
	v_add_co_ci_u32_e32 v15, vcc_lo, 0, v19, vcc_lo
	v_ashrrev_i32_e32 v18, 31, v13
	s_delay_alu instid0(VALU_DEP_3) | instskip(NEXT) | instid1(VALU_DEP_3)
	v_add_co_u32 v7, vcc_lo, v14, v7
	v_add_co_ci_u32_e32 v14, vcc_lo, 0, v15, vcc_lo
	s_delay_alu instid0(VALU_DEP_2) | instskip(NEXT) | instid1(VALU_DEP_2)
	v_add_co_u32 v3, vcc_lo, v3, v7
	v_add_co_ci_u32_e32 v6, vcc_lo, v6, v14, vcc_lo
	s_delay_alu instid0(VALU_DEP_2) | instskip(SKIP_1) | instid1(VALU_DEP_3)
	v_mul_hi_u32 v7, s0, v3
	v_mul_lo_u32 v15, s49, v3
	v_mul_lo_u32 v14, s0, v6
	s_delay_alu instid0(VALU_DEP_1) | instskip(SKIP_1) | instid1(VALU_DEP_2)
	v_add_nc_u32_e32 v7, v7, v14
	v_mul_lo_u32 v14, s0, v3
	v_add_nc_u32_e32 v7, v7, v15
	s_delay_alu instid0(VALU_DEP_2) | instskip(NEXT) | instid1(VALU_DEP_2)
	v_mul_hi_u32 v15, v3, v14
	v_mul_lo_u32 v16, v3, v7
	v_mul_hi_u32 v17, v3, v7
	v_mul_hi_u32 v19, v6, v14
	v_mul_lo_u32 v14, v6, v14
	v_mul_hi_u32 v20, v6, v7
	v_mul_lo_u32 v7, v6, v7
	v_add_co_u32 v15, vcc_lo, v15, v16
	v_add_co_ci_u32_e32 v16, vcc_lo, 0, v17, vcc_lo
	s_delay_alu instid0(VALU_DEP_2) | instskip(NEXT) | instid1(VALU_DEP_2)
	v_add_co_u32 v14, vcc_lo, v15, v14
	v_add_co_ci_u32_e32 v14, vcc_lo, v16, v19, vcc_lo
	v_add_co_ci_u32_e32 v15, vcc_lo, 0, v20, vcc_lo
	v_add_co_u32 v12, vcc_lo, v12, v18
	v_add_co_ci_u32_e32 v13, vcc_lo, v13, v18, vcc_lo
	s_delay_alu instid0(VALU_DEP_4) | instskip(NEXT) | instid1(VALU_DEP_4)
	v_add_co_u32 v7, vcc_lo, v14, v7
	v_add_co_ci_u32_e32 v14, vcc_lo, 0, v15, vcc_lo
	s_delay_alu instid0(VALU_DEP_4) | instskip(NEXT) | instid1(VALU_DEP_3)
	v_xor_b32_e32 v16, v12, v18
	v_add_co_u32 v3, vcc_lo, v3, v7
	s_delay_alu instid0(VALU_DEP_3) | instskip(SKIP_1) | instid1(VALU_DEP_3)
	v_add_co_ci_u32_e32 v17, vcc_lo, v6, v14, vcc_lo
	v_xor_b32_e32 v19, v13, v18
	v_mul_hi_u32 v20, v16, v3
	s_delay_alu instid0(VALU_DEP_3) | instskip(NEXT) | instid1(VALU_DEP_3)
	v_mad_u64_u32 v[6:7], null, v16, v17, 0
	v_mad_u64_u32 v[12:13], null, v19, v3, 0
	;; [unrolled: 1-line block ×3, first 2 shown]
	s_delay_alu instid0(VALU_DEP_3) | instskip(NEXT) | instid1(VALU_DEP_4)
	v_add_co_u32 v3, vcc_lo, v20, v6
	v_add_co_ci_u32_e32 v6, vcc_lo, 0, v7, vcc_lo
	s_delay_alu instid0(VALU_DEP_2) | instskip(NEXT) | instid1(VALU_DEP_2)
	v_add_co_u32 v3, vcc_lo, v3, v12
	v_add_co_ci_u32_e32 v3, vcc_lo, v6, v13, vcc_lo
	v_add_co_ci_u32_e32 v6, vcc_lo, 0, v15, vcc_lo
	s_delay_alu instid0(VALU_DEP_2) | instskip(NEXT) | instid1(VALU_DEP_2)
	v_add_co_u32 v3, vcc_lo, v3, v14
	v_add_co_ci_u32_e32 v12, vcc_lo, 0, v6, vcc_lo
	s_delay_alu instid0(VALU_DEP_2) | instskip(SKIP_1) | instid1(VALU_DEP_3)
	v_mul_lo_u32 v13, s47, v3
	v_mad_u64_u32 v[6:7], null, s46, v3, 0
	v_mul_lo_u32 v14, s46, v12
	s_delay_alu instid0(VALU_DEP_2) | instskip(NEXT) | instid1(VALU_DEP_2)
	v_sub_co_u32 v6, vcc_lo, v16, v6
	v_add3_u32 v7, v7, v14, v13
	s_delay_alu instid0(VALU_DEP_1) | instskip(NEXT) | instid1(VALU_DEP_1)
	v_sub_nc_u32_e32 v13, v19, v7
	v_subrev_co_ci_u32_e64 v13, s0, s47, v13, vcc_lo
	v_add_co_u32 v14, s0, v3, 2
	s_delay_alu instid0(VALU_DEP_1) | instskip(SKIP_3) | instid1(VALU_DEP_3)
	v_add_co_ci_u32_e64 v15, s0, 0, v12, s0
	v_sub_co_u32 v16, s0, v6, s46
	v_sub_co_ci_u32_e32 v7, vcc_lo, v19, v7, vcc_lo
	v_subrev_co_ci_u32_e64 v13, s0, 0, v13, s0
	v_cmp_le_u32_e32 vcc_lo, s46, v16
	s_delay_alu instid0(VALU_DEP_3) | instskip(SKIP_1) | instid1(VALU_DEP_4)
	v_cmp_eq_u32_e64 s0, s47, v7
	v_cndmask_b32_e64 v16, 0, -1, vcc_lo
	v_cmp_le_u32_e32 vcc_lo, s47, v13
	v_cndmask_b32_e64 v17, 0, -1, vcc_lo
	v_cmp_le_u32_e32 vcc_lo, s46, v6
	;; [unrolled: 2-line block ×3, first 2 shown]
	v_cndmask_b32_e64 v19, 0, -1, vcc_lo
	v_cmp_eq_u32_e32 vcc_lo, s47, v13
	s_delay_alu instid0(VALU_DEP_2) | instskip(SKIP_3) | instid1(VALU_DEP_3)
	v_cndmask_b32_e64 v6, v19, v6, s0
	v_cndmask_b32_e32 v13, v17, v16, vcc_lo
	v_add_co_u32 v16, vcc_lo, v3, 1
	v_add_co_ci_u32_e32 v17, vcc_lo, 0, v12, vcc_lo
	v_cmp_ne_u32_e32 vcc_lo, 0, v13
	s_delay_alu instid0(VALU_DEP_2) | instskip(NEXT) | instid1(VALU_DEP_4)
	v_cndmask_b32_e32 v7, v17, v15, vcc_lo
	v_cndmask_b32_e32 v13, v16, v14, vcc_lo
	v_cmp_ne_u32_e32 vcc_lo, 0, v6
	v_xor_b32_e32 v6, s2, v18
	s_delay_alu instid0(VALU_DEP_3) | instskip(SKIP_2) | instid1(VALU_DEP_3)
	v_cndmask_b32_e32 v3, v3, v13, vcc_lo
	v_cndmask_b32_e32 v7, v12, v7, vcc_lo
	v_xor_b32_e32 v12, s3, v18
	v_xor_b32_e32 v3, v3, v6
	s_delay_alu instid0(VALU_DEP_2) | instskip(NEXT) | instid1(VALU_DEP_2)
	v_xor_b32_e32 v7, v7, v12
	v_sub_co_u32 v6, vcc_lo, v3, v6
	s_delay_alu instid0(VALU_DEP_2)
	v_sub_co_ci_u32_e32 v7, vcc_lo, v7, v12, vcc_lo
                                        ; implicit-def: $vgpr12
.LBB27_20:                              ;   in Loop: Header=BB27_3 Depth=1
	s_and_not1_saveexec_b32 s0, s48
	s_cbranch_execz .LBB27_22
; %bb.21:                               ;   in Loop: Header=BB27_3 Depth=1
	v_cvt_f32_u32_e32 v3, s58
	s_sub_i32 s2, 0, s58
	s_delay_alu instid0(VALU_DEP_1) | instskip(SKIP_2) | instid1(VALU_DEP_1)
	v_rcp_iflag_f32_e32 v3, v3
	s_waitcnt_depctr 0xfff
	v_mul_f32_e32 v3, 0x4f7ffffe, v3
	v_cvt_u32_f32_e32 v3, v3
	s_delay_alu instid0(VALU_DEP_1) | instskip(NEXT) | instid1(VALU_DEP_1)
	v_mul_lo_u32 v6, s2, v3
	v_mul_hi_u32 v6, v3, v6
	s_delay_alu instid0(VALU_DEP_1) | instskip(NEXT) | instid1(VALU_DEP_1)
	v_add_nc_u32_e32 v3, v3, v6
	v_mul_hi_u32 v3, v12, v3
	s_delay_alu instid0(VALU_DEP_1) | instskip(SKIP_1) | instid1(VALU_DEP_2)
	v_mul_lo_u32 v6, v3, s58
	v_add_nc_u32_e32 v7, 1, v3
	v_sub_nc_u32_e32 v6, v12, v6
	s_delay_alu instid0(VALU_DEP_1) | instskip(SKIP_1) | instid1(VALU_DEP_2)
	v_subrev_nc_u32_e32 v12, s58, v6
	v_cmp_le_u32_e32 vcc_lo, s58, v6
	v_dual_cndmask_b32 v6, v6, v12 :: v_dual_cndmask_b32 v3, v3, v7
	s_delay_alu instid0(VALU_DEP_1) | instskip(NEXT) | instid1(VALU_DEP_2)
	v_cmp_le_u32_e32 vcc_lo, s58, v6
	v_add_nc_u32_e32 v7, 1, v3
	s_delay_alu instid0(VALU_DEP_1)
	v_dual_cndmask_b32 v6, v3, v7 :: v_dual_mov_b32 v7, v2
.LBB27_22:                              ;   in Loop: Header=BB27_3 Depth=1
	s_or_b32 exec_lo, exec_lo, s0
	s_delay_alu instid0(VALU_DEP_1) | instskip(NEXT) | instid1(VALU_DEP_2)
	v_add_co_u32 v6, vcc_lo, v6, 1
	v_add_co_ci_u32_e32 v7, vcc_lo, 0, v7, vcc_lo
.LBB27_23:                              ;   in Loop: Header=BB27_3 Depth=1
	s_or_b32 exec_lo, exec_lo, s1
	v_or_b32_e32 v3, s57, v11
                                        ; implicit-def: $vgpr12_vgpr13
	s_mov_b32 s0, exec_lo
	s_delay_alu instid0(VALU_DEP_1)
	v_cmpx_ne_u64_e32 0, v[2:3]
	s_xor_b32 s1, exec_lo, s0
	s_cbranch_execnz .LBB27_26
; %bb.24:                               ;   in Loop: Header=BB27_3 Depth=1
	s_and_not1_saveexec_b32 s0, s1
	s_cbranch_execnz .LBB27_27
.LBB27_25:                              ;   in Loop: Header=BB27_3 Depth=1
	s_or_b32 exec_lo, exec_lo, s0
	s_delay_alu instid0(SALU_CYCLE_1)
	s_and_not1_b32 vcc_lo, exec_lo, s33
	s_cbranch_vccnz .LBB27_2
	s_branch .LBB27_28
.LBB27_26:                              ;   in Loop: Header=BB27_3 Depth=1
	s_add_u32 s46, s58, s57
	s_mov_b32 s2, s57
	s_mov_b32 s3, s57
	s_addc_u32 s47, s57, s57
	s_delay_alu instid0(SALU_CYCLE_1) | instskip(NEXT) | instid1(SALU_CYCLE_1)
	s_xor_b64 s[46:47], s[46:47], s[2:3]
	v_cvt_f32_u32_e32 v3, s46
	v_cvt_f32_u32_e32 v12, s47
	s_sub_u32 s0, 0, s46
	s_subb_u32 s48, 0, s47
	s_delay_alu instid0(VALU_DEP_1) | instskip(NEXT) | instid1(VALU_DEP_1)
	v_fmac_f32_e32 v3, 0x4f800000, v12
	v_rcp_f32_e32 v3, v3
	s_waitcnt_depctr 0xfff
	v_mul_f32_e32 v3, 0x5f7ffffc, v3
	s_delay_alu instid0(VALU_DEP_1) | instskip(NEXT) | instid1(VALU_DEP_1)
	v_mul_f32_e32 v12, 0x2f800000, v3
	v_trunc_f32_e32 v12, v12
	s_delay_alu instid0(VALU_DEP_1) | instskip(SKIP_1) | instid1(VALU_DEP_2)
	v_fmac_f32_e32 v3, 0xcf800000, v12
	v_cvt_u32_f32_e32 v12, v12
	v_cvt_u32_f32_e32 v3, v3
	s_delay_alu instid0(VALU_DEP_2) | instskip(NEXT) | instid1(VALU_DEP_2)
	v_mul_lo_u32 v13, s0, v12
	v_mul_hi_u32 v14, s0, v3
	v_mul_lo_u32 v15, s48, v3
	s_delay_alu instid0(VALU_DEP_2) | instskip(SKIP_1) | instid1(VALU_DEP_2)
	v_add_nc_u32_e32 v13, v14, v13
	v_mul_lo_u32 v14, s0, v3
	v_add_nc_u32_e32 v13, v13, v15
	s_delay_alu instid0(VALU_DEP_2) | instskip(NEXT) | instid1(VALU_DEP_2)
	v_mul_hi_u32 v15, v3, v14
	v_mul_lo_u32 v16, v3, v13
	v_mul_hi_u32 v17, v3, v13
	v_mul_hi_u32 v18, v12, v14
	v_mul_lo_u32 v14, v12, v14
	v_mul_hi_u32 v19, v12, v13
	v_mul_lo_u32 v13, v12, v13
	v_add_co_u32 v15, vcc_lo, v15, v16
	v_add_co_ci_u32_e32 v16, vcc_lo, 0, v17, vcc_lo
	s_delay_alu instid0(VALU_DEP_2) | instskip(NEXT) | instid1(VALU_DEP_2)
	v_add_co_u32 v14, vcc_lo, v15, v14
	v_add_co_ci_u32_e32 v14, vcc_lo, v16, v18, vcc_lo
	v_add_co_ci_u32_e32 v15, vcc_lo, 0, v19, vcc_lo
	v_ashrrev_i32_e32 v18, 31, v11
	s_delay_alu instid0(VALU_DEP_3) | instskip(NEXT) | instid1(VALU_DEP_3)
	v_add_co_u32 v13, vcc_lo, v14, v13
	v_add_co_ci_u32_e32 v14, vcc_lo, 0, v15, vcc_lo
	s_delay_alu instid0(VALU_DEP_2) | instskip(NEXT) | instid1(VALU_DEP_2)
	v_add_co_u32 v3, vcc_lo, v3, v13
	v_add_co_ci_u32_e32 v12, vcc_lo, v12, v14, vcc_lo
	s_delay_alu instid0(VALU_DEP_2) | instskip(SKIP_1) | instid1(VALU_DEP_3)
	v_mul_hi_u32 v13, s0, v3
	v_mul_lo_u32 v15, s48, v3
	v_mul_lo_u32 v14, s0, v12
	s_delay_alu instid0(VALU_DEP_1) | instskip(SKIP_1) | instid1(VALU_DEP_2)
	v_add_nc_u32_e32 v13, v13, v14
	v_mul_lo_u32 v14, s0, v3
	v_add_nc_u32_e32 v13, v13, v15
	s_delay_alu instid0(VALU_DEP_2) | instskip(NEXT) | instid1(VALU_DEP_2)
	v_mul_hi_u32 v15, v3, v14
	v_mul_lo_u32 v16, v3, v13
	v_mul_hi_u32 v17, v3, v13
	v_mul_hi_u32 v19, v12, v14
	v_mul_lo_u32 v14, v12, v14
	v_mul_hi_u32 v20, v12, v13
	v_mul_lo_u32 v13, v12, v13
	v_add_co_u32 v15, vcc_lo, v15, v16
	v_add_co_ci_u32_e32 v16, vcc_lo, 0, v17, vcc_lo
	s_delay_alu instid0(VALU_DEP_2) | instskip(NEXT) | instid1(VALU_DEP_2)
	v_add_co_u32 v14, vcc_lo, v15, v14
	v_add_co_ci_u32_e32 v14, vcc_lo, v16, v19, vcc_lo
	v_add_co_ci_u32_e32 v15, vcc_lo, 0, v20, vcc_lo
	v_add_co_u32 v10, vcc_lo, v10, v18
	v_add_co_ci_u32_e32 v11, vcc_lo, v11, v18, vcc_lo
	s_delay_alu instid0(VALU_DEP_4) | instskip(NEXT) | instid1(VALU_DEP_4)
	v_add_co_u32 v13, vcc_lo, v14, v13
	v_add_co_ci_u32_e32 v14, vcc_lo, 0, v15, vcc_lo
	s_delay_alu instid0(VALU_DEP_4) | instskip(NEXT) | instid1(VALU_DEP_3)
	v_xor_b32_e32 v16, v10, v18
	v_add_co_u32 v3, vcc_lo, v3, v13
	s_delay_alu instid0(VALU_DEP_3) | instskip(SKIP_1) | instid1(VALU_DEP_3)
	v_add_co_ci_u32_e32 v17, vcc_lo, v12, v14, vcc_lo
	v_xor_b32_e32 v19, v11, v18
	v_mul_hi_u32 v20, v16, v3
	s_delay_alu instid0(VALU_DEP_3) | instskip(NEXT) | instid1(VALU_DEP_3)
	v_mad_u64_u32 v[10:11], null, v16, v17, 0
	v_mad_u64_u32 v[12:13], null, v19, v3, 0
	;; [unrolled: 1-line block ×3, first 2 shown]
	s_delay_alu instid0(VALU_DEP_3) | instskip(NEXT) | instid1(VALU_DEP_4)
	v_add_co_u32 v3, vcc_lo, v20, v10
	v_add_co_ci_u32_e32 v10, vcc_lo, 0, v11, vcc_lo
	s_delay_alu instid0(VALU_DEP_2) | instskip(NEXT) | instid1(VALU_DEP_2)
	v_add_co_u32 v3, vcc_lo, v3, v12
	v_add_co_ci_u32_e32 v3, vcc_lo, v10, v13, vcc_lo
	v_add_co_ci_u32_e32 v10, vcc_lo, 0, v15, vcc_lo
	s_delay_alu instid0(VALU_DEP_2) | instskip(NEXT) | instid1(VALU_DEP_2)
	v_add_co_u32 v3, vcc_lo, v3, v14
	v_add_co_ci_u32_e32 v12, vcc_lo, 0, v10, vcc_lo
	s_delay_alu instid0(VALU_DEP_2) | instskip(SKIP_1) | instid1(VALU_DEP_3)
	v_mul_lo_u32 v13, s47, v3
	v_mad_u64_u32 v[10:11], null, s46, v3, 0
	v_mul_lo_u32 v14, s46, v12
	s_delay_alu instid0(VALU_DEP_2) | instskip(NEXT) | instid1(VALU_DEP_2)
	v_sub_co_u32 v10, vcc_lo, v16, v10
	v_add3_u32 v11, v11, v14, v13
	s_delay_alu instid0(VALU_DEP_1) | instskip(NEXT) | instid1(VALU_DEP_1)
	v_sub_nc_u32_e32 v13, v19, v11
	v_subrev_co_ci_u32_e64 v13, s0, s47, v13, vcc_lo
	v_add_co_u32 v14, s0, v3, 2
	s_delay_alu instid0(VALU_DEP_1) | instskip(SKIP_3) | instid1(VALU_DEP_3)
	v_add_co_ci_u32_e64 v15, s0, 0, v12, s0
	v_sub_co_u32 v16, s0, v10, s46
	v_sub_co_ci_u32_e32 v11, vcc_lo, v19, v11, vcc_lo
	v_subrev_co_ci_u32_e64 v13, s0, 0, v13, s0
	v_cmp_le_u32_e32 vcc_lo, s46, v16
	s_delay_alu instid0(VALU_DEP_3) | instskip(SKIP_1) | instid1(VALU_DEP_4)
	v_cmp_eq_u32_e64 s0, s47, v11
	v_cndmask_b32_e64 v16, 0, -1, vcc_lo
	v_cmp_le_u32_e32 vcc_lo, s47, v13
	v_cndmask_b32_e64 v17, 0, -1, vcc_lo
	v_cmp_le_u32_e32 vcc_lo, s46, v10
	;; [unrolled: 2-line block ×3, first 2 shown]
	v_cndmask_b32_e64 v19, 0, -1, vcc_lo
	v_cmp_eq_u32_e32 vcc_lo, s47, v13
	s_delay_alu instid0(VALU_DEP_2) | instskip(SKIP_3) | instid1(VALU_DEP_3)
	v_cndmask_b32_e64 v10, v19, v10, s0
	v_cndmask_b32_e32 v13, v17, v16, vcc_lo
	v_add_co_u32 v16, vcc_lo, v3, 1
	v_add_co_ci_u32_e32 v17, vcc_lo, 0, v12, vcc_lo
	v_cmp_ne_u32_e32 vcc_lo, 0, v13
	s_delay_alu instid0(VALU_DEP_2) | instskip(NEXT) | instid1(VALU_DEP_4)
	v_cndmask_b32_e32 v11, v17, v15, vcc_lo
	v_cndmask_b32_e32 v13, v16, v14, vcc_lo
	v_cmp_ne_u32_e32 vcc_lo, 0, v10
	v_xor_b32_e32 v10, s2, v18
	s_delay_alu instid0(VALU_DEP_3) | instskip(SKIP_2) | instid1(VALU_DEP_3)
	v_cndmask_b32_e32 v3, v3, v13, vcc_lo
	v_cndmask_b32_e32 v11, v12, v11, vcc_lo
	v_xor_b32_e32 v13, s3, v18
	v_xor_b32_e32 v3, v3, v10
	s_delay_alu instid0(VALU_DEP_2) | instskip(NEXT) | instid1(VALU_DEP_2)
	v_xor_b32_e32 v11, v11, v13
	v_sub_co_u32 v12, vcc_lo, v3, v10
	s_delay_alu instid0(VALU_DEP_2)
	v_sub_co_ci_u32_e32 v13, vcc_lo, v11, v13, vcc_lo
                                        ; implicit-def: $vgpr10
	s_and_not1_saveexec_b32 s0, s1
	s_cbranch_execz .LBB27_25
.LBB27_27:                              ;   in Loop: Header=BB27_3 Depth=1
	v_cvt_f32_u32_e32 v3, s58
	s_sub_i32 s1, 0, s58
	v_mov_b32_e32 v13, v2
	s_delay_alu instid0(VALU_DEP_2) | instskip(SKIP_2) | instid1(VALU_DEP_1)
	v_rcp_iflag_f32_e32 v3, v3
	s_waitcnt_depctr 0xfff
	v_mul_f32_e32 v3, 0x4f7ffffe, v3
	v_cvt_u32_f32_e32 v3, v3
	s_delay_alu instid0(VALU_DEP_1) | instskip(NEXT) | instid1(VALU_DEP_1)
	v_mul_lo_u32 v11, s1, v3
	v_mul_hi_u32 v11, v3, v11
	s_delay_alu instid0(VALU_DEP_1) | instskip(NEXT) | instid1(VALU_DEP_1)
	v_add_nc_u32_e32 v3, v3, v11
	v_mul_hi_u32 v3, v10, v3
	s_delay_alu instid0(VALU_DEP_1) | instskip(NEXT) | instid1(VALU_DEP_1)
	v_mul_lo_u32 v11, v3, s58
	v_sub_nc_u32_e32 v10, v10, v11
	v_add_nc_u32_e32 v11, 1, v3
	s_delay_alu instid0(VALU_DEP_2) | instskip(SKIP_1) | instid1(VALU_DEP_2)
	v_subrev_nc_u32_e32 v12, s58, v10
	v_cmp_le_u32_e32 vcc_lo, s58, v10
	v_dual_cndmask_b32 v10, v10, v12 :: v_dual_cndmask_b32 v3, v3, v11
	s_delay_alu instid0(VALU_DEP_1) | instskip(NEXT) | instid1(VALU_DEP_2)
	v_cmp_le_u32_e32 vcc_lo, s58, v10
	v_add_nc_u32_e32 v11, 1, v3
	s_delay_alu instid0(VALU_DEP_1) | instskip(SKIP_1) | instid1(SALU_CYCLE_1)
	v_cndmask_b32_e32 v12, v3, v11, vcc_lo
	s_or_b32 exec_lo, exec_lo, s0
	s_and_not1_b32 vcc_lo, exec_lo, s33
	s_cbranch_vccnz .LBB27_2
.LBB27_28:                              ;   in Loop: Header=BB27_3 Depth=1
	v_add_co_u32 v3, vcc_lo, s61, v0
	v_add_co_ci_u32_e32 v14, vcc_lo, s60, v1, vcc_lo
	v_add_co_u32 v10, vcc_lo, v12, 1
	v_add_co_ci_u32_e32 v11, vcc_lo, 0, v13, vcc_lo
	s_delay_alu instid0(VALU_DEP_3)
	v_mul_lo_u32 v16, s30, v14
	v_mul_lo_u32 v17, s31, v3
	v_mad_u64_u32 v[14:15], null, s30, v3, v[6:7]
	v_add_co_u32 v12, vcc_lo, v8, 1
	v_add_co_ci_u32_e32 v13, vcc_lo, 0, v9, vcc_lo
	s_load_b32 s3, s[34:35], 0x4
	v_cmp_gt_i64_e32 vcc_lo, s[30:31], v[10:11]
	s_delay_alu instid0(VALU_DEP_4) | instskip(NEXT) | instid1(VALU_DEP_3)
	v_add3_u32 v15, v17, v15, v16
	v_cmp_gt_i64_e64 s0, s[28:29], v[12:13]
	v_lshlrev_b64 v[16:17], 1, v[4:5]
	v_cndmask_b32_e32 v9, s31, v11, vcc_lo
	v_cndmask_b32_e32 v8, s30, v10, vcc_lo
	s_delay_alu instid0(VALU_DEP_4)
	v_cndmask_b32_e64 v11, s29, v13, s0
	v_cndmask_b32_e64 v10, s28, v12, s0
	v_lshlrev_b64 v[12:13], 3, v[14:15]
	v_add_co_u32 v3, vcc_lo, s36, v16
	v_lshlrev_b64 v[14:15], 1, v[14:15]
	v_add_co_ci_u32_e32 v33, vcc_lo, s37, v17, vcc_lo
	s_delay_alu instid0(VALU_DEP_4) | instskip(SKIP_1) | instid1(VALU_DEP_4)
	v_add_co_u32 v12, vcc_lo, s18, v12
	v_add_co_ci_u32_e32 v13, vcc_lo, s19, v13, vcc_lo
	v_add_co_u32 v14, vcc_lo, s16, v14
	v_cmp_lt_i64_e64 s0, v[0:1], v[10:11]
	v_cmp_lt_i64_e64 s1, v[6:7], v[8:9]
	s_waitcnt lgkmcnt(0)
	s_mul_i32 s2, s9, s3
	s_mul_hi_u32 s46, s8, s3
	v_add_co_ci_u32_e32 v15, vcc_lo, s17, v15, vcc_lo
	s_add_i32 s63, s46, s2
	s_mul_i32 s2, s41, s3
	s_mul_hi_u32 s46, s40, s3
	s_mul_i32 s64, s8, s3
	s_add_i32 s65, s46, s2
	s_mul_i32 s66, s40, s3
	s_mov_b64 s[46:47], s[14:15]
	s_branch .LBB27_30
.LBB27_29:                              ;   in Loop: Header=BB27_30 Depth=2
	s_add_u32 s46, s46, s3
	s_addc_u32 s47, s47, 0
	v_add_co_u32 v12, vcc_lo, v12, s64
	v_cmp_ge_i64_e64 s2, s[46:47], s[20:21]
	v_add_co_ci_u32_e32 v13, vcc_lo, s63, v13, vcc_lo
	v_add_co_u32 v14, vcc_lo, v14, s66
	v_add_co_ci_u32_e32 v15, vcc_lo, s65, v15, vcc_lo
	s_delay_alu instid0(VALU_DEP_4)
	s_and_b32 vcc_lo, exec_lo, s2
	s_cbranch_vccnz .LBB27_2
.LBB27_30:                              ;   Parent Loop BB27_3 Depth=1
                                        ; =>  This Loop Header: Depth=2
                                        ;       Child Loop BB27_34 Depth 3
                                        ;         Child Loop BB27_38 Depth 4
                                        ;           Child Loop BB27_41 Depth 5
	s_and_not1_b32 vcc_lo, exec_lo, s50
	s_cbranch_vccnz .LBB27_29
; %bb.31:                               ;   in Loop: Header=BB27_30 Depth=2
	s_load_b32 s67, s[34:35], 0x8
	s_mul_i32 s2, s46, s23
	s_mul_hi_u32 s48, s46, s22
	s_mul_i32 s49, s47, s22
	s_add_i32 s2, s48, s2
	v_dual_mov_b32 v17, v15 :: v_dual_mov_b32 v16, v14
	v_dual_mov_b32 v19, v13 :: v_dual_mov_b32 v18, v12
	s_add_i32 s69, s2, s49
	s_mul_i32 s68, s46, s22
	s_waitcnt lgkmcnt(0)
	s_mul_i32 s2, s11, s67
	s_mul_hi_u32 s48, s10, s67
	s_mul_i32 s49, s43, s67
	s_mul_hi_u32 s73, s42, s67
	s_mul_i32 s70, s10, s67
	s_mul_i32 s71, s42, s67
	s_add_i32 s72, s48, s2
	s_add_i32 s73, s73, s49
	s_mov_b64 s[48:49], s[12:13]
	s_branch .LBB27_34
.LBB27_32:                              ;   in Loop: Header=BB27_34 Depth=3
	s_or_b32 exec_lo, exec_lo, s75
.LBB27_33:                              ;   in Loop: Header=BB27_34 Depth=3
	s_delay_alu instid0(SALU_CYCLE_1) | instskip(NEXT) | instid1(VALU_DEP_1)
	s_or_b32 exec_lo, exec_lo, s74
	v_bfe_u32 v20, v34, 16, 1
	s_add_u32 s2, s48, s68
	s_addc_u32 s74, s49, s69
	s_mul_hi_u32 s75, s24, s2
	s_mul_i32 s74, s24, s74
	v_add3_u32 v20, v34, v20, 0x7fff
	s_mul_i32 s76, s25, s2
	s_add_i32 s75, s75, s74
	v_cmp_o_f32_e32 vcc_lo, v34, v34
	s_mul_i32 s74, s24, s2
	v_lshrrev_b32_e32 v20, 16, v20
	s_add_i32 s75, s75, s76
	s_delay_alu instid0(SALU_CYCLE_1) | instskip(SKIP_1) | instid1(VALU_DEP_1)
	s_lshl_b64 s[74:75], s[74:75], 1
	s_add_u32 s48, s48, s67
	v_cndmask_b32_e32 v22, 0x7fc0, v20, vcc_lo
	v_add_co_u32 v20, vcc_lo, v3, s74
	v_add_co_ci_u32_e32 v21, vcc_lo, s75, v33, vcc_lo
	s_addc_u32 s49, s49, 0
	v_add_co_u32 v18, vcc_lo, v18, s70
	v_cmp_ge_i64_e64 s2, s[48:49], s[22:23]
	v_add_co_ci_u32_e32 v19, vcc_lo, s72, v19, vcc_lo
	v_add_co_u32 v16, vcc_lo, v16, s71
	v_add_co_ci_u32_e32 v17, vcc_lo, s73, v17, vcc_lo
	s_delay_alu instid0(VALU_DEP_4)
	s_and_b32 vcc_lo, exec_lo, s2
	global_store_b16 v[20:21], v22, off
	s_cbranch_vccnz .LBB27_29
.LBB27_34:                              ;   Parent Loop BB27_3 Depth=1
                                        ;     Parent Loop BB27_30 Depth=2
                                        ; =>    This Loop Header: Depth=3
                                        ;         Child Loop BB27_38 Depth 4
                                        ;           Child Loop BB27_41 Depth 5
	v_mov_b32_e32 v34, 0
	s_and_saveexec_b32 s74, s0
	s_cbranch_execz .LBB27_33
; %bb.35:                               ;   in Loop: Header=BB27_34 Depth=3
	v_dual_mov_b32 v34, 0 :: v_dual_mov_b32 v21, v17
	v_dual_mov_b32 v20, v16 :: v_dual_mov_b32 v23, v19
	;; [unrolled: 1-line block ×3, first 2 shown]
	v_mov_b32_e32 v24, v0
	s_mov_b32 s75, 0
	s_branch .LBB27_38
.LBB27_36:                              ;   in Loop: Header=BB27_38 Depth=4
	s_set_inst_prefetch_distance 0x2
	s_or_b32 exec_lo, exec_lo, s77
.LBB27_37:                              ;   in Loop: Header=BB27_38 Depth=4
	s_delay_alu instid0(SALU_CYCLE_1) | instskip(SKIP_4) | instid1(VALU_DEP_3)
	s_or_b32 exec_lo, exec_lo, s76
	v_add_co_u32 v24, vcc_lo, v24, 1
	v_add_co_ci_u32_e32 v25, vcc_lo, 0, v25, vcc_lo
	v_add_co_u32 v22, vcc_lo, v22, s38
	v_add_co_ci_u32_e32 v23, vcc_lo, s39, v23, vcc_lo
	v_cmp_ge_i64_e32 vcc_lo, v[24:25], v[10:11]
	v_add_co_u32 v20, s2, v20, s44
	s_delay_alu instid0(VALU_DEP_1) | instskip(SKIP_1) | instid1(SALU_CYCLE_1)
	v_add_co_ci_u32_e64 v21, s2, s45, v21, s2
	s_or_b32 s75, vcc_lo, s75
	s_and_not1_b32 exec_lo, exec_lo, s75
	s_cbranch_execz .LBB27_32
.LBB27_38:                              ;   Parent Loop BB27_3 Depth=1
                                        ;     Parent Loop BB27_30 Depth=2
                                        ;       Parent Loop BB27_34 Depth=3
                                        ; =>      This Loop Header: Depth=4
                                        ;           Child Loop BB27_41 Depth 5
	s_and_saveexec_b32 s76, s1
	s_cbranch_execz .LBB27_37
; %bb.39:                               ;   in Loop: Header=BB27_38 Depth=4
	v_dual_mov_b32 v27, v21 :: v_dual_mov_b32 v26, v20
	v_dual_mov_b32 v29, v23 :: v_dual_mov_b32 v28, v22
	;; [unrolled: 1-line block ×3, first 2 shown]
	s_mov_b32 s77, 0
	s_set_inst_prefetch_distance 0x1
	s_branch .LBB27_41
	.p2align	6
.LBB27_40:                              ;   in Loop: Header=BB27_41 Depth=5
	s_or_b32 exec_lo, exec_lo, s2
	v_add_co_u32 v30, vcc_lo, v30, 1
	v_add_co_ci_u32_e32 v31, vcc_lo, 0, v31, vcc_lo
	v_add_co_u32 v28, vcc_lo, v28, 8
	v_add_co_ci_u32_e32 v29, vcc_lo, 0, v29, vcc_lo
	s_delay_alu instid0(VALU_DEP_3) | instskip(SKIP_1) | instid1(VALU_DEP_1)
	v_cmp_ge_i64_e32 vcc_lo, v[30:31], v[8:9]
	v_add_co_u32 v26, s2, v26, 2
	v_add_co_ci_u32_e64 v27, s2, 0, v27, s2
	s_or_b32 s77, vcc_lo, s77
	s_delay_alu instid0(SALU_CYCLE_1)
	s_and_not1_b32 exec_lo, exec_lo, s77
	s_cbranch_execz .LBB27_36
.LBB27_41:                              ;   Parent Loop BB27_3 Depth=1
                                        ;     Parent Loop BB27_30 Depth=2
                                        ;       Parent Loop BB27_34 Depth=3
                                        ;         Parent Loop BB27_38 Depth=4
                                        ; =>        This Inner Loop Header: Depth=5
	global_load_b64 v[35:36], v[28:29], off
	s_mov_b32 s2, exec_lo
	s_waitcnt vmcnt(0)
	v_cmpx_eq_u64_e64 v[35:36], v[4:5]
	s_cbranch_execz .LBB27_40
; %bb.42:                               ;   in Loop: Header=BB27_41 Depth=5
	global_load_u16 v35, v[26:27], off
	s_waitcnt vmcnt(0)
	v_lshlrev_b32_e32 v35, 16, v35
	s_delay_alu instid0(VALU_DEP_1)
	v_add_f32_e32 v34, v34, v35
	s_branch .LBB27_40
.LBB27_43:
	s_nop 0
	s_sendmsg sendmsg(MSG_DEALLOC_VGPRS)
	s_endpgm
	.section	.rodata,"a",@progbits
	.p2align	6, 0x0
	.amdhsa_kernel _ZN2at6native12_GLOBAL__N_122max_pool_backward_nchwIN3c108BFloat16EflEEvPKT_PKlT1_SA_SA_SA_SA_SA_iiiiiiiiPS5_
		.amdhsa_group_segment_fixed_size 0
		.amdhsa_private_segment_fixed_size 0
		.amdhsa_kernarg_size 360
		.amdhsa_user_sgpr_count 13
		.amdhsa_user_sgpr_dispatch_ptr 0
		.amdhsa_user_sgpr_queue_ptr 0
		.amdhsa_user_sgpr_kernarg_segment_ptr 1
		.amdhsa_user_sgpr_dispatch_id 0
		.amdhsa_user_sgpr_private_segment_size 0
		.amdhsa_wavefront_size32 1
		.amdhsa_uses_dynamic_stack 0
		.amdhsa_enable_private_segment 0
		.amdhsa_system_sgpr_workgroup_id_x 1
		.amdhsa_system_sgpr_workgroup_id_y 1
		.amdhsa_system_sgpr_workgroup_id_z 1
		.amdhsa_system_sgpr_workgroup_info 0
		.amdhsa_system_vgpr_workitem_id 0
		.amdhsa_next_free_vgpr 37
		.amdhsa_next_free_sgpr 78
		.amdhsa_reserve_vcc 1
		.amdhsa_float_round_mode_32 0
		.amdhsa_float_round_mode_16_64 0
		.amdhsa_float_denorm_mode_32 3
		.amdhsa_float_denorm_mode_16_64 3
		.amdhsa_dx10_clamp 1
		.amdhsa_ieee_mode 1
		.amdhsa_fp16_overflow 0
		.amdhsa_workgroup_processor_mode 1
		.amdhsa_memory_ordered 1
		.amdhsa_forward_progress 0
		.amdhsa_shared_vgpr_count 0
		.amdhsa_exception_fp_ieee_invalid_op 0
		.amdhsa_exception_fp_denorm_src 0
		.amdhsa_exception_fp_ieee_div_zero 0
		.amdhsa_exception_fp_ieee_overflow 0
		.amdhsa_exception_fp_ieee_underflow 0
		.amdhsa_exception_fp_ieee_inexact 0
		.amdhsa_exception_int_div_zero 0
	.end_amdhsa_kernel
	.section	.text._ZN2at6native12_GLOBAL__N_122max_pool_backward_nchwIN3c108BFloat16EflEEvPKT_PKlT1_SA_SA_SA_SA_SA_iiiiiiiiPS5_,"axG",@progbits,_ZN2at6native12_GLOBAL__N_122max_pool_backward_nchwIN3c108BFloat16EflEEvPKT_PKlT1_SA_SA_SA_SA_SA_iiiiiiiiPS5_,comdat
.Lfunc_end27:
	.size	_ZN2at6native12_GLOBAL__N_122max_pool_backward_nchwIN3c108BFloat16EflEEvPKT_PKlT1_SA_SA_SA_SA_SA_iiiiiiiiPS5_, .Lfunc_end27-_ZN2at6native12_GLOBAL__N_122max_pool_backward_nchwIN3c108BFloat16EflEEvPKT_PKlT1_SA_SA_SA_SA_SA_iiiiiiiiPS5_
                                        ; -- End function
	.section	.AMDGPU.csdata,"",@progbits
; Kernel info:
; codeLenInByte = 6464
; NumSgprs: 80
; NumVgprs: 37
; ScratchSize: 0
; MemoryBound: 0
; FloatMode: 240
; IeeeMode: 1
; LDSByteSize: 0 bytes/workgroup (compile time only)
; SGPRBlocks: 9
; VGPRBlocks: 4
; NumSGPRsForWavesPerEU: 80
; NumVGPRsForWavesPerEU: 37
; Occupancy: 16
; WaveLimiterHint : 0
; COMPUTE_PGM_RSRC2:SCRATCH_EN: 0
; COMPUTE_PGM_RSRC2:USER_SGPR: 13
; COMPUTE_PGM_RSRC2:TRAP_HANDLER: 0
; COMPUTE_PGM_RSRC2:TGID_X_EN: 1
; COMPUTE_PGM_RSRC2:TGID_Y_EN: 1
; COMPUTE_PGM_RSRC2:TGID_Z_EN: 1
; COMPUTE_PGM_RSRC2:TIDIG_COMP_CNT: 0
	.text
	.p2alignl 7, 3214868480
	.fill 96, 4, 3214868480
	.type	__hip_cuid_6bedc36abb1d2163,@object ; @__hip_cuid_6bedc36abb1d2163
	.section	.bss,"aw",@nobits
	.globl	__hip_cuid_6bedc36abb1d2163
__hip_cuid_6bedc36abb1d2163:
	.byte	0                               ; 0x0
	.size	__hip_cuid_6bedc36abb1d2163, 1

	.ident	"AMD clang version 19.0.0git (https://github.com/RadeonOpenCompute/llvm-project roc-6.4.0 25133 c7fe45cf4b819c5991fe208aaa96edf142730f1d)"
	.section	".note.GNU-stack","",@progbits
	.addrsig
	.addrsig_sym __hip_cuid_6bedc36abb1d2163
	.amdgpu_metadata
---
amdhsa.kernels:
  - .args:
      - .address_space:  global
        .offset:         0
        .size:           8
        .value_kind:     global_buffer
      - .offset:         8
        .size:           4
        .value_kind:     by_value
      - .offset:         12
        .size:           4
        .value_kind:     by_value
      - .offset:         16
        .size:           4
        .value_kind:     by_value
      - .offset:         20
        .size:           4
        .value_kind:     by_value
      - .offset:         24
        .size:           4
        .value_kind:     by_value
      - .offset:         28
        .size:           4
        .value_kind:     by_value
      - .offset:         32
        .size:           4
        .value_kind:     by_value
      - .offset:         36
        .size:           4
        .value_kind:     by_value
      - .offset:         40
        .size:           4
        .value_kind:     by_value
      - .offset:         44
        .size:           4
        .value_kind:     by_value
      - .offset:         48
        .size:           4
        .value_kind:     by_value
      - .offset:         52
        .size:           4
        .value_kind:     by_value
      - .offset:         56
        .size:           4
        .value_kind:     by_value
      - .offset:         60
        .size:           4
        .value_kind:     by_value
      - .offset:         64
        .size:           4
        .value_kind:     by_value
      - .offset:         68
        .size:           4
        .value_kind:     by_value
      - .offset:         72
        .size:           4
        .value_kind:     by_value
      - .offset:         76
        .size:           4
        .value_kind:     by_value
      - .offset:         80
        .size:           4
        .value_kind:     by_value
      - .offset:         84
        .size:           4
        .value_kind:     by_value
      - .address_space:  global
        .offset:         88
        .size:           8
        .value_kind:     global_buffer
      - .address_space:  global
        .offset:         96
        .size:           8
        .value_kind:     global_buffer
      - .offset:         104
        .size:           4
        .value_kind:     hidden_block_count_x
      - .offset:         108
        .size:           4
        .value_kind:     hidden_block_count_y
      - .offset:         112
        .size:           4
        .value_kind:     hidden_block_count_z
      - .offset:         116
        .size:           2
        .value_kind:     hidden_group_size_x
      - .offset:         118
        .size:           2
        .value_kind:     hidden_group_size_y
      - .offset:         120
        .size:           2
        .value_kind:     hidden_group_size_z
      - .offset:         122
        .size:           2
        .value_kind:     hidden_remainder_x
      - .offset:         124
        .size:           2
        .value_kind:     hidden_remainder_y
      - .offset:         126
        .size:           2
        .value_kind:     hidden_remainder_z
      - .offset:         144
        .size:           8
        .value_kind:     hidden_global_offset_x
      - .offset:         152
        .size:           8
        .value_kind:     hidden_global_offset_y
      - .offset:         160
        .size:           8
        .value_kind:     hidden_global_offset_z
      - .offset:         168
        .size:           2
        .value_kind:     hidden_grid_dims
      - .offset:         224
        .size:           4
        .value_kind:     hidden_dynamic_lds_size
    .group_segment_fixed_size: 0
    .kernarg_segment_align: 8
    .kernarg_segment_size: 360
    .language:       OpenCL C
    .language_version:
      - 2
      - 0
    .max_flat_workgroup_size: 256
    .name:           _ZN2at6native12_GLOBAL__N_121max_pool_forward_nhwcIdiEEvPKT_iT0_S6_S6_S6_S6_iiiiiiiiS6_S6_S6_S6_iiPS3_Pl
    .private_segment_fixed_size: 0
    .sgpr_count:     52
    .sgpr_spill_count: 0
    .symbol:         _ZN2at6native12_GLOBAL__N_121max_pool_forward_nhwcIdiEEvPKT_iT0_S6_S6_S6_S6_iiiiiiiiS6_S6_S6_S6_iiPS3_Pl.kd
    .uniform_work_group_size: 1
    .uses_dynamic_stack: false
    .vgpr_count:     52
    .vgpr_spill_count: 0
    .wavefront_size: 32
    .workgroup_processor_mode: 1
  - .args:
      - .address_space:  global
        .offset:         0
        .size:           8
        .value_kind:     global_buffer
      - .offset:         8
        .size:           4
        .value_kind:     by_value
      - .offset:         16
        .size:           8
        .value_kind:     by_value
      - .offset:         24
        .size:           8
        .value_kind:     by_value
      - .offset:         32
        .size:           8
        .value_kind:     by_value
      - .offset:         40
        .size:           8
        .value_kind:     by_value
      - .offset:         48
        .size:           8
        .value_kind:     by_value
      - .offset:         56
        .size:           4
        .value_kind:     by_value
      - .offset:         60
        .size:           4
        .value_kind:     by_value
      - .offset:         64
        .size:           4
        .value_kind:     by_value
      - .offset:         68
        .size:           4
        .value_kind:     by_value
      - .offset:         72
        .size:           4
        .value_kind:     by_value
      - .offset:         76
        .size:           4
        .value_kind:     by_value
      - .offset:         80
        .size:           4
        .value_kind:     by_value
      - .offset:         84
        .size:           4
        .value_kind:     by_value
      - .offset:         88
        .size:           8
        .value_kind:     by_value
      - .offset:         96
        .size:           8
        .value_kind:     by_value
      - .offset:         104
        .size:           8
        .value_kind:     by_value
      - .offset:         112
        .size:           8
        .value_kind:     by_value
      - .offset:         120
        .size:           4
        .value_kind:     by_value
      - .offset:         124
        .size:           4
        .value_kind:     by_value
      - .address_space:  global
        .offset:         128
        .size:           8
        .value_kind:     global_buffer
      - .address_space:  global
        .offset:         136
        .size:           8
        .value_kind:     global_buffer
      - .offset:         144
        .size:           4
        .value_kind:     hidden_block_count_x
      - .offset:         148
        .size:           4
        .value_kind:     hidden_block_count_y
      - .offset:         152
        .size:           4
        .value_kind:     hidden_block_count_z
      - .offset:         156
        .size:           2
        .value_kind:     hidden_group_size_x
      - .offset:         158
        .size:           2
        .value_kind:     hidden_group_size_y
      - .offset:         160
        .size:           2
        .value_kind:     hidden_group_size_z
      - .offset:         162
        .size:           2
        .value_kind:     hidden_remainder_x
      - .offset:         164
        .size:           2
        .value_kind:     hidden_remainder_y
      - .offset:         166
        .size:           2
        .value_kind:     hidden_remainder_z
      - .offset:         184
        .size:           8
        .value_kind:     hidden_global_offset_x
      - .offset:         192
        .size:           8
        .value_kind:     hidden_global_offset_y
      - .offset:         200
        .size:           8
        .value_kind:     hidden_global_offset_z
      - .offset:         208
        .size:           2
        .value_kind:     hidden_grid_dims
      - .offset:         264
        .size:           4
        .value_kind:     hidden_dynamic_lds_size
    .group_segment_fixed_size: 0
    .kernarg_segment_align: 8
    .kernarg_segment_size: 400
    .language:       OpenCL C
    .language_version:
      - 2
      - 0
    .max_flat_workgroup_size: 256
    .name:           _ZN2at6native12_GLOBAL__N_121max_pool_forward_nhwcIdlEEvPKT_iT0_S6_S6_S6_S6_iiiiiiiiS6_S6_S6_S6_iiPS3_Pl
    .private_segment_fixed_size: 0
    .sgpr_count:     67
    .sgpr_spill_count: 0
    .symbol:         _ZN2at6native12_GLOBAL__N_121max_pool_forward_nhwcIdlEEvPKT_iT0_S6_S6_S6_S6_iiiiiiiiS6_S6_S6_S6_iiPS3_Pl.kd
    .uniform_work_group_size: 1
    .uses_dynamic_stack: false
    .vgpr_count:     69
    .vgpr_spill_count: 0
    .wavefront_size: 32
    .workgroup_processor_mode: 1
  - .args:
      - .offset:         0
        .size:           4
        .value_kind:     by_value
      - .address_space:  global
        .offset:         8
        .size:           8
        .value_kind:     global_buffer
      - .offset:         16
        .size:           8
        .value_kind:     by_value
      - .offset:         24
        .size:           8
        .value_kind:     by_value
      - .offset:         32
        .size:           8
        .value_kind:     by_value
      - .offset:         40
        .size:           4
        .value_kind:     by_value
      - .offset:         44
        .size:           4
        .value_kind:     by_value
      - .offset:         48
        .size:           4
        .value_kind:     by_value
      - .offset:         52
        .size:           4
        .value_kind:     by_value
      - .offset:         56
        .size:           4
        .value_kind:     by_value
      - .offset:         60
        .size:           4
        .value_kind:     by_value
      - .offset:         64
        .size:           4
        .value_kind:     by_value
      - .offset:         68
        .size:           4
        .value_kind:     by_value
      - .offset:         72
        .size:           4
        .value_kind:     by_value
      - .offset:         76
        .size:           4
        .value_kind:     by_value
      - .address_space:  global
        .offset:         80
        .size:           8
        .value_kind:     global_buffer
      - .address_space:  global
        .offset:         88
        .size:           8
        .value_kind:     global_buffer
      - .offset:         96
        .size:           4
        .value_kind:     hidden_block_count_x
      - .offset:         100
        .size:           4
        .value_kind:     hidden_block_count_y
      - .offset:         104
        .size:           4
        .value_kind:     hidden_block_count_z
      - .offset:         108
        .size:           2
        .value_kind:     hidden_group_size_x
      - .offset:         110
        .size:           2
        .value_kind:     hidden_group_size_y
      - .offset:         112
        .size:           2
        .value_kind:     hidden_group_size_z
      - .offset:         114
        .size:           2
        .value_kind:     hidden_remainder_x
      - .offset:         116
        .size:           2
        .value_kind:     hidden_remainder_y
      - .offset:         118
        .size:           2
        .value_kind:     hidden_remainder_z
      - .offset:         136
        .size:           8
        .value_kind:     hidden_global_offset_x
      - .offset:         144
        .size:           8
        .value_kind:     hidden_global_offset_y
      - .offset:         152
        .size:           8
        .value_kind:     hidden_global_offset_z
      - .offset:         160
        .size:           2
        .value_kind:     hidden_grid_dims
    .group_segment_fixed_size: 0
    .kernarg_segment_align: 8
    .kernarg_segment_size: 352
    .language:       OpenCL C
    .language_version:
      - 2
      - 0
    .max_flat_workgroup_size: 1024
    .name:           _ZN2at6native12_GLOBAL__N_121max_pool_forward_nchwIdiEEvT0_PKT_llliiiiiiiiiiPS4_Pl
    .private_segment_fixed_size: 0
    .sgpr_count:     51
    .sgpr_spill_count: 0
    .symbol:         _ZN2at6native12_GLOBAL__N_121max_pool_forward_nchwIdiEEvT0_PKT_llliiiiiiiiiiPS4_Pl.kd
    .uniform_work_group_size: 1
    .uses_dynamic_stack: false
    .vgpr_count:     26
    .vgpr_spill_count: 0
    .wavefront_size: 32
    .workgroup_processor_mode: 1
  - .args:
      - .offset:         0
        .size:           8
        .value_kind:     by_value
      - .address_space:  global
        .offset:         8
        .size:           8
        .value_kind:     global_buffer
      - .offset:         16
        .size:           8
        .value_kind:     by_value
      - .offset:         24
        .size:           8
        .value_kind:     by_value
      - .offset:         32
        .size:           8
        .value_kind:     by_value
      - .offset:         40
        .size:           4
        .value_kind:     by_value
      - .offset:         44
        .size:           4
        .value_kind:     by_value
      - .offset:         48
        .size:           4
        .value_kind:     by_value
      - .offset:         52
        .size:           4
        .value_kind:     by_value
      - .offset:         56
        .size:           4
        .value_kind:     by_value
      - .offset:         60
        .size:           4
        .value_kind:     by_value
      - .offset:         64
        .size:           4
        .value_kind:     by_value
      - .offset:         68
        .size:           4
        .value_kind:     by_value
      - .offset:         72
        .size:           4
        .value_kind:     by_value
      - .offset:         76
        .size:           4
        .value_kind:     by_value
      - .address_space:  global
        .offset:         80
        .size:           8
        .value_kind:     global_buffer
      - .address_space:  global
        .offset:         88
        .size:           8
        .value_kind:     global_buffer
      - .offset:         96
        .size:           4
        .value_kind:     hidden_block_count_x
      - .offset:         100
        .size:           4
        .value_kind:     hidden_block_count_y
      - .offset:         104
        .size:           4
        .value_kind:     hidden_block_count_z
      - .offset:         108
        .size:           2
        .value_kind:     hidden_group_size_x
      - .offset:         110
        .size:           2
        .value_kind:     hidden_group_size_y
      - .offset:         112
        .size:           2
        .value_kind:     hidden_group_size_z
      - .offset:         114
        .size:           2
        .value_kind:     hidden_remainder_x
      - .offset:         116
        .size:           2
        .value_kind:     hidden_remainder_y
      - .offset:         118
        .size:           2
        .value_kind:     hidden_remainder_z
      - .offset:         136
        .size:           8
        .value_kind:     hidden_global_offset_x
      - .offset:         144
        .size:           8
        .value_kind:     hidden_global_offset_y
      - .offset:         152
        .size:           8
        .value_kind:     hidden_global_offset_z
      - .offset:         160
        .size:           2
        .value_kind:     hidden_grid_dims
    .group_segment_fixed_size: 0
    .kernarg_segment_align: 8
    .kernarg_segment_size: 352
    .language:       OpenCL C
    .language_version:
      - 2
      - 0
    .max_flat_workgroup_size: 1024
    .name:           _ZN2at6native12_GLOBAL__N_121max_pool_forward_nchwIdlEEvT0_PKT_llliiiiiiiiiiPS4_Pl
    .private_segment_fixed_size: 0
    .sgpr_count:     51
    .sgpr_spill_count: 0
    .symbol:         _ZN2at6native12_GLOBAL__N_121max_pool_forward_nchwIdlEEvT0_PKT_llliiiiiiiiiiPS4_Pl.kd
    .uniform_work_group_size: 1
    .uses_dynamic_stack: false
    .vgpr_count:     25
    .vgpr_spill_count: 0
    .wavefront_size: 32
    .workgroup_processor_mode: 1
  - .args:
      - .address_space:  global
        .offset:         0
        .size:           8
        .value_kind:     global_buffer
      - .offset:         8
        .size:           4
        .value_kind:     by_value
      - .offset:         12
        .size:           4
        .value_kind:     by_value
      - .offset:         16
        .size:           4
        .value_kind:     by_value
      - .offset:         20
        .size:           4
        .value_kind:     by_value
      - .offset:         24
        .size:           4
        .value_kind:     by_value
      - .offset:         28
        .size:           4
        .value_kind:     by_value
      - .offset:         32
        .size:           4
        .value_kind:     by_value
      - .offset:         36
        .size:           4
        .value_kind:     by_value
      - .offset:         40
        .size:           4
        .value_kind:     by_value
      - .offset:         44
        .size:           4
        .value_kind:     by_value
      - .offset:         48
        .size:           4
        .value_kind:     by_value
      - .offset:         52
        .size:           4
        .value_kind:     by_value
      - .offset:         56
        .size:           4
        .value_kind:     by_value
      - .offset:         60
        .size:           4
        .value_kind:     by_value
      - .offset:         64
        .size:           4
        .value_kind:     by_value
      - .offset:         68
        .size:           4
        .value_kind:     by_value
      - .offset:         72
        .size:           4
        .value_kind:     by_value
      - .offset:         76
        .size:           4
        .value_kind:     by_value
      - .offset:         80
        .size:           4
        .value_kind:     by_value
      - .offset:         84
        .size:           4
        .value_kind:     by_value
      - .address_space:  global
        .offset:         88
        .size:           8
        .value_kind:     global_buffer
      - .address_space:  global
        .offset:         96
        .size:           8
        .value_kind:     global_buffer
      - .offset:         104
        .size:           4
        .value_kind:     hidden_block_count_x
      - .offset:         108
        .size:           4
        .value_kind:     hidden_block_count_y
      - .offset:         112
        .size:           4
        .value_kind:     hidden_block_count_z
      - .offset:         116
        .size:           2
        .value_kind:     hidden_group_size_x
      - .offset:         118
        .size:           2
        .value_kind:     hidden_group_size_y
      - .offset:         120
        .size:           2
        .value_kind:     hidden_group_size_z
      - .offset:         122
        .size:           2
        .value_kind:     hidden_remainder_x
      - .offset:         124
        .size:           2
        .value_kind:     hidden_remainder_y
      - .offset:         126
        .size:           2
        .value_kind:     hidden_remainder_z
      - .offset:         144
        .size:           8
        .value_kind:     hidden_global_offset_x
      - .offset:         152
        .size:           8
        .value_kind:     hidden_global_offset_y
      - .offset:         160
        .size:           8
        .value_kind:     hidden_global_offset_z
      - .offset:         168
        .size:           2
        .value_kind:     hidden_grid_dims
      - .offset:         224
        .size:           4
        .value_kind:     hidden_dynamic_lds_size
    .group_segment_fixed_size: 0
    .kernarg_segment_align: 8
    .kernarg_segment_size: 360
    .language:       OpenCL C
    .language_version:
      - 2
      - 0
    .max_flat_workgroup_size: 256
    .name:           _ZN2at6native12_GLOBAL__N_121max_pool_forward_nhwcIfiEEvPKT_iT0_S6_S6_S6_S6_iiiiiiiiS6_S6_S6_S6_iiPS3_Pl
    .private_segment_fixed_size: 0
    .sgpr_count:     49
    .sgpr_spill_count: 0
    .symbol:         _ZN2at6native12_GLOBAL__N_121max_pool_forward_nhwcIfiEEvPKT_iT0_S6_S6_S6_S6_iiiiiiiiS6_S6_S6_S6_iiPS3_Pl.kd
    .uniform_work_group_size: 1
    .uses_dynamic_stack: false
    .vgpr_count:     47
    .vgpr_spill_count: 0
    .wavefront_size: 32
    .workgroup_processor_mode: 1
  - .args:
      - .address_space:  global
        .offset:         0
        .size:           8
        .value_kind:     global_buffer
      - .offset:         8
        .size:           4
        .value_kind:     by_value
      - .offset:         16
        .size:           8
        .value_kind:     by_value
      - .offset:         24
        .size:           8
        .value_kind:     by_value
      - .offset:         32
        .size:           8
        .value_kind:     by_value
      - .offset:         40
        .size:           8
        .value_kind:     by_value
      - .offset:         48
        .size:           8
        .value_kind:     by_value
      - .offset:         56
        .size:           4
        .value_kind:     by_value
      - .offset:         60
        .size:           4
        .value_kind:     by_value
      - .offset:         64
        .size:           4
        .value_kind:     by_value
      - .offset:         68
        .size:           4
        .value_kind:     by_value
      - .offset:         72
        .size:           4
        .value_kind:     by_value
      - .offset:         76
        .size:           4
        .value_kind:     by_value
      - .offset:         80
        .size:           4
        .value_kind:     by_value
      - .offset:         84
        .size:           4
        .value_kind:     by_value
      - .offset:         88
        .size:           8
        .value_kind:     by_value
      - .offset:         96
        .size:           8
        .value_kind:     by_value
      - .offset:         104
        .size:           8
        .value_kind:     by_value
      - .offset:         112
        .size:           8
        .value_kind:     by_value
      - .offset:         120
        .size:           4
        .value_kind:     by_value
      - .offset:         124
        .size:           4
        .value_kind:     by_value
      - .address_space:  global
        .offset:         128
        .size:           8
        .value_kind:     global_buffer
      - .address_space:  global
        .offset:         136
        .size:           8
        .value_kind:     global_buffer
      - .offset:         144
        .size:           4
        .value_kind:     hidden_block_count_x
      - .offset:         148
        .size:           4
        .value_kind:     hidden_block_count_y
      - .offset:         152
        .size:           4
        .value_kind:     hidden_block_count_z
      - .offset:         156
        .size:           2
        .value_kind:     hidden_group_size_x
      - .offset:         158
        .size:           2
        .value_kind:     hidden_group_size_y
      - .offset:         160
        .size:           2
        .value_kind:     hidden_group_size_z
      - .offset:         162
        .size:           2
        .value_kind:     hidden_remainder_x
      - .offset:         164
        .size:           2
        .value_kind:     hidden_remainder_y
      - .offset:         166
        .size:           2
        .value_kind:     hidden_remainder_z
      - .offset:         184
        .size:           8
        .value_kind:     hidden_global_offset_x
      - .offset:         192
        .size:           8
        .value_kind:     hidden_global_offset_y
      - .offset:         200
        .size:           8
        .value_kind:     hidden_global_offset_z
      - .offset:         208
        .size:           2
        .value_kind:     hidden_grid_dims
      - .offset:         264
        .size:           4
        .value_kind:     hidden_dynamic_lds_size
    .group_segment_fixed_size: 0
    .kernarg_segment_align: 8
    .kernarg_segment_size: 400
    .language:       OpenCL C
    .language_version:
      - 2
      - 0
    .max_flat_workgroup_size: 256
    .name:           _ZN2at6native12_GLOBAL__N_121max_pool_forward_nhwcIflEEvPKT_iT0_S6_S6_S6_S6_iiiiiiiiS6_S6_S6_S6_iiPS3_Pl
    .private_segment_fixed_size: 0
    .sgpr_count:     68
    .sgpr_spill_count: 0
    .symbol:         _ZN2at6native12_GLOBAL__N_121max_pool_forward_nhwcIflEEvPKT_iT0_S6_S6_S6_S6_iiiiiiiiS6_S6_S6_S6_iiPS3_Pl.kd
    .uniform_work_group_size: 1
    .uses_dynamic_stack: false
    .vgpr_count:     64
    .vgpr_spill_count: 0
    .wavefront_size: 32
    .workgroup_processor_mode: 1
  - .args:
      - .offset:         0
        .size:           4
        .value_kind:     by_value
      - .address_space:  global
        .offset:         8
        .size:           8
        .value_kind:     global_buffer
      - .offset:         16
        .size:           8
        .value_kind:     by_value
      - .offset:         24
        .size:           8
        .value_kind:     by_value
      - .offset:         32
        .size:           8
        .value_kind:     by_value
      - .offset:         40
        .size:           4
        .value_kind:     by_value
      - .offset:         44
        .size:           4
        .value_kind:     by_value
      - .offset:         48
        .size:           4
        .value_kind:     by_value
      - .offset:         52
        .size:           4
        .value_kind:     by_value
      - .offset:         56
        .size:           4
        .value_kind:     by_value
      - .offset:         60
        .size:           4
        .value_kind:     by_value
      - .offset:         64
        .size:           4
        .value_kind:     by_value
      - .offset:         68
        .size:           4
        .value_kind:     by_value
      - .offset:         72
        .size:           4
        .value_kind:     by_value
      - .offset:         76
        .size:           4
        .value_kind:     by_value
      - .address_space:  global
        .offset:         80
        .size:           8
        .value_kind:     global_buffer
      - .address_space:  global
        .offset:         88
        .size:           8
        .value_kind:     global_buffer
      - .offset:         96
        .size:           4
        .value_kind:     hidden_block_count_x
      - .offset:         100
        .size:           4
        .value_kind:     hidden_block_count_y
      - .offset:         104
        .size:           4
        .value_kind:     hidden_block_count_z
      - .offset:         108
        .size:           2
        .value_kind:     hidden_group_size_x
      - .offset:         110
        .size:           2
        .value_kind:     hidden_group_size_y
      - .offset:         112
        .size:           2
        .value_kind:     hidden_group_size_z
      - .offset:         114
        .size:           2
        .value_kind:     hidden_remainder_x
      - .offset:         116
        .size:           2
        .value_kind:     hidden_remainder_y
      - .offset:         118
        .size:           2
        .value_kind:     hidden_remainder_z
      - .offset:         136
        .size:           8
        .value_kind:     hidden_global_offset_x
      - .offset:         144
        .size:           8
        .value_kind:     hidden_global_offset_y
      - .offset:         152
        .size:           8
        .value_kind:     hidden_global_offset_z
      - .offset:         160
        .size:           2
        .value_kind:     hidden_grid_dims
    .group_segment_fixed_size: 0
    .kernarg_segment_align: 8
    .kernarg_segment_size: 352
    .language:       OpenCL C
    .language_version:
      - 2
      - 0
    .max_flat_workgroup_size: 1024
    .name:           _ZN2at6native12_GLOBAL__N_121max_pool_forward_nchwIfiEEvT0_PKT_llliiiiiiiiiiPS4_Pl
    .private_segment_fixed_size: 0
    .sgpr_count:     51
    .sgpr_spill_count: 0
    .symbol:         _ZN2at6native12_GLOBAL__N_121max_pool_forward_nchwIfiEEvT0_PKT_llliiiiiiiiiiPS4_Pl.kd
    .uniform_work_group_size: 1
    .uses_dynamic_stack: false
    .vgpr_count:     27
    .vgpr_spill_count: 0
    .wavefront_size: 32
    .workgroup_processor_mode: 1
  - .args:
      - .offset:         0
        .size:           8
        .value_kind:     by_value
      - .address_space:  global
        .offset:         8
        .size:           8
        .value_kind:     global_buffer
      - .offset:         16
        .size:           8
        .value_kind:     by_value
      - .offset:         24
        .size:           8
        .value_kind:     by_value
      - .offset:         32
        .size:           8
        .value_kind:     by_value
      - .offset:         40
        .size:           4
        .value_kind:     by_value
      - .offset:         44
        .size:           4
        .value_kind:     by_value
      - .offset:         48
        .size:           4
        .value_kind:     by_value
      - .offset:         52
        .size:           4
        .value_kind:     by_value
      - .offset:         56
        .size:           4
        .value_kind:     by_value
      - .offset:         60
        .size:           4
        .value_kind:     by_value
      - .offset:         64
        .size:           4
        .value_kind:     by_value
      - .offset:         68
        .size:           4
        .value_kind:     by_value
      - .offset:         72
        .size:           4
        .value_kind:     by_value
      - .offset:         76
        .size:           4
        .value_kind:     by_value
      - .address_space:  global
        .offset:         80
        .size:           8
        .value_kind:     global_buffer
      - .address_space:  global
        .offset:         88
        .size:           8
        .value_kind:     global_buffer
      - .offset:         96
        .size:           4
        .value_kind:     hidden_block_count_x
      - .offset:         100
        .size:           4
        .value_kind:     hidden_block_count_y
      - .offset:         104
        .size:           4
        .value_kind:     hidden_block_count_z
      - .offset:         108
        .size:           2
        .value_kind:     hidden_group_size_x
      - .offset:         110
        .size:           2
        .value_kind:     hidden_group_size_y
      - .offset:         112
        .size:           2
        .value_kind:     hidden_group_size_z
      - .offset:         114
        .size:           2
        .value_kind:     hidden_remainder_x
      - .offset:         116
        .size:           2
        .value_kind:     hidden_remainder_y
      - .offset:         118
        .size:           2
        .value_kind:     hidden_remainder_z
      - .offset:         136
        .size:           8
        .value_kind:     hidden_global_offset_x
      - .offset:         144
        .size:           8
        .value_kind:     hidden_global_offset_y
      - .offset:         152
        .size:           8
        .value_kind:     hidden_global_offset_z
      - .offset:         160
        .size:           2
        .value_kind:     hidden_grid_dims
    .group_segment_fixed_size: 0
    .kernarg_segment_align: 8
    .kernarg_segment_size: 352
    .language:       OpenCL C
    .language_version:
      - 2
      - 0
    .max_flat_workgroup_size: 1024
    .name:           _ZN2at6native12_GLOBAL__N_121max_pool_forward_nchwIflEEvT0_PKT_llliiiiiiiiiiPS4_Pl
    .private_segment_fixed_size: 0
    .sgpr_count:     51
    .sgpr_spill_count: 0
    .symbol:         _ZN2at6native12_GLOBAL__N_121max_pool_forward_nchwIflEEvT0_PKT_llliiiiiiiiiiPS4_Pl.kd
    .uniform_work_group_size: 1
    .uses_dynamic_stack: false
    .vgpr_count:     25
    .vgpr_spill_count: 0
    .wavefront_size: 32
    .workgroup_processor_mode: 1
  - .args:
      - .address_space:  global
        .offset:         0
        .size:           8
        .value_kind:     global_buffer
      - .offset:         8
        .size:           4
        .value_kind:     by_value
      - .offset:         12
        .size:           4
        .value_kind:     by_value
      - .offset:         16
        .size:           4
        .value_kind:     by_value
      - .offset:         20
        .size:           4
        .value_kind:     by_value
      - .offset:         24
        .size:           4
        .value_kind:     by_value
      - .offset:         28
        .size:           4
        .value_kind:     by_value
      - .offset:         32
        .size:           4
        .value_kind:     by_value
      - .offset:         36
        .size:           4
        .value_kind:     by_value
      - .offset:         40
        .size:           4
        .value_kind:     by_value
      - .offset:         44
        .size:           4
        .value_kind:     by_value
      - .offset:         48
        .size:           4
        .value_kind:     by_value
      - .offset:         52
        .size:           4
        .value_kind:     by_value
      - .offset:         56
        .size:           4
        .value_kind:     by_value
      - .offset:         60
        .size:           4
        .value_kind:     by_value
      - .offset:         64
        .size:           4
        .value_kind:     by_value
      - .offset:         68
        .size:           4
        .value_kind:     by_value
      - .offset:         72
        .size:           4
        .value_kind:     by_value
      - .offset:         76
        .size:           4
        .value_kind:     by_value
      - .offset:         80
        .size:           4
        .value_kind:     by_value
      - .offset:         84
        .size:           4
        .value_kind:     by_value
      - .address_space:  global
        .offset:         88
        .size:           8
        .value_kind:     global_buffer
      - .address_space:  global
        .offset:         96
        .size:           8
        .value_kind:     global_buffer
      - .offset:         104
        .size:           4
        .value_kind:     hidden_block_count_x
      - .offset:         108
        .size:           4
        .value_kind:     hidden_block_count_y
      - .offset:         112
        .size:           4
        .value_kind:     hidden_block_count_z
      - .offset:         116
        .size:           2
        .value_kind:     hidden_group_size_x
      - .offset:         118
        .size:           2
        .value_kind:     hidden_group_size_y
      - .offset:         120
        .size:           2
        .value_kind:     hidden_group_size_z
      - .offset:         122
        .size:           2
        .value_kind:     hidden_remainder_x
      - .offset:         124
        .size:           2
        .value_kind:     hidden_remainder_y
      - .offset:         126
        .size:           2
        .value_kind:     hidden_remainder_z
      - .offset:         144
        .size:           8
        .value_kind:     hidden_global_offset_x
      - .offset:         152
        .size:           8
        .value_kind:     hidden_global_offset_y
      - .offset:         160
        .size:           8
        .value_kind:     hidden_global_offset_z
      - .offset:         168
        .size:           2
        .value_kind:     hidden_grid_dims
      - .offset:         224
        .size:           4
        .value_kind:     hidden_dynamic_lds_size
    .group_segment_fixed_size: 0
    .kernarg_segment_align: 8
    .kernarg_segment_size: 360
    .language:       OpenCL C
    .language_version:
      - 2
      - 0
    .max_flat_workgroup_size: 256
    .name:           _ZN2at6native12_GLOBAL__N_121max_pool_forward_nhwcIN3c104HalfEiEEvPKT_iT0_S8_S8_S8_S8_iiiiiiiiS8_S8_S8_S8_iiPS5_Pl
    .private_segment_fixed_size: 0
    .sgpr_count:     50
    .sgpr_spill_count: 0
    .symbol:         _ZN2at6native12_GLOBAL__N_121max_pool_forward_nhwcIN3c104HalfEiEEvPKT_iT0_S8_S8_S8_S8_iiiiiiiiS8_S8_S8_S8_iiPS5_Pl.kd
    .uniform_work_group_size: 1
    .uses_dynamic_stack: false
    .vgpr_count:     46
    .vgpr_spill_count: 0
    .wavefront_size: 32
    .workgroup_processor_mode: 1
  - .args:
      - .address_space:  global
        .offset:         0
        .size:           8
        .value_kind:     global_buffer
      - .offset:         8
        .size:           4
        .value_kind:     by_value
      - .offset:         16
        .size:           8
        .value_kind:     by_value
      - .offset:         24
        .size:           8
        .value_kind:     by_value
      - .offset:         32
        .size:           8
        .value_kind:     by_value
      - .offset:         40
        .size:           8
        .value_kind:     by_value
      - .offset:         48
        .size:           8
        .value_kind:     by_value
      - .offset:         56
        .size:           4
        .value_kind:     by_value
      - .offset:         60
        .size:           4
        .value_kind:     by_value
      - .offset:         64
        .size:           4
        .value_kind:     by_value
      - .offset:         68
        .size:           4
        .value_kind:     by_value
      - .offset:         72
        .size:           4
        .value_kind:     by_value
      - .offset:         76
        .size:           4
        .value_kind:     by_value
      - .offset:         80
        .size:           4
        .value_kind:     by_value
      - .offset:         84
        .size:           4
        .value_kind:     by_value
      - .offset:         88
        .size:           8
        .value_kind:     by_value
      - .offset:         96
        .size:           8
        .value_kind:     by_value
      - .offset:         104
        .size:           8
        .value_kind:     by_value
      - .offset:         112
        .size:           8
        .value_kind:     by_value
      - .offset:         120
        .size:           4
        .value_kind:     by_value
      - .offset:         124
        .size:           4
        .value_kind:     by_value
      - .address_space:  global
        .offset:         128
        .size:           8
        .value_kind:     global_buffer
      - .address_space:  global
        .offset:         136
        .size:           8
        .value_kind:     global_buffer
      - .offset:         144
        .size:           4
        .value_kind:     hidden_block_count_x
      - .offset:         148
        .size:           4
        .value_kind:     hidden_block_count_y
      - .offset:         152
        .size:           4
        .value_kind:     hidden_block_count_z
      - .offset:         156
        .size:           2
        .value_kind:     hidden_group_size_x
      - .offset:         158
        .size:           2
        .value_kind:     hidden_group_size_y
      - .offset:         160
        .size:           2
        .value_kind:     hidden_group_size_z
      - .offset:         162
        .size:           2
        .value_kind:     hidden_remainder_x
      - .offset:         164
        .size:           2
        .value_kind:     hidden_remainder_y
      - .offset:         166
        .size:           2
        .value_kind:     hidden_remainder_z
      - .offset:         184
        .size:           8
        .value_kind:     hidden_global_offset_x
      - .offset:         192
        .size:           8
        .value_kind:     hidden_global_offset_y
      - .offset:         200
        .size:           8
        .value_kind:     hidden_global_offset_z
      - .offset:         208
        .size:           2
        .value_kind:     hidden_grid_dims
      - .offset:         264
        .size:           4
        .value_kind:     hidden_dynamic_lds_size
    .group_segment_fixed_size: 0
    .kernarg_segment_align: 8
    .kernarg_segment_size: 400
    .language:       OpenCL C
    .language_version:
      - 2
      - 0
    .max_flat_workgroup_size: 256
    .name:           _ZN2at6native12_GLOBAL__N_121max_pool_forward_nhwcIN3c104HalfElEEvPKT_iT0_S8_S8_S8_S8_iiiiiiiiS8_S8_S8_S8_iiPS5_Pl
    .private_segment_fixed_size: 0
    .sgpr_count:     68
    .sgpr_spill_count: 0
    .symbol:         _ZN2at6native12_GLOBAL__N_121max_pool_forward_nhwcIN3c104HalfElEEvPKT_iT0_S8_S8_S8_S8_iiiiiiiiS8_S8_S8_S8_iiPS5_Pl.kd
    .uniform_work_group_size: 1
    .uses_dynamic_stack: false
    .vgpr_count:     64
    .vgpr_spill_count: 0
    .wavefront_size: 32
    .workgroup_processor_mode: 1
  - .args:
      - .offset:         0
        .size:           4
        .value_kind:     by_value
      - .address_space:  global
        .offset:         8
        .size:           8
        .value_kind:     global_buffer
      - .offset:         16
        .size:           8
        .value_kind:     by_value
      - .offset:         24
        .size:           8
        .value_kind:     by_value
      - .offset:         32
        .size:           8
        .value_kind:     by_value
      - .offset:         40
        .size:           4
        .value_kind:     by_value
      - .offset:         44
        .size:           4
        .value_kind:     by_value
      - .offset:         48
        .size:           4
        .value_kind:     by_value
      - .offset:         52
        .size:           4
        .value_kind:     by_value
      - .offset:         56
        .size:           4
        .value_kind:     by_value
      - .offset:         60
        .size:           4
        .value_kind:     by_value
      - .offset:         64
        .size:           4
        .value_kind:     by_value
      - .offset:         68
        .size:           4
        .value_kind:     by_value
      - .offset:         72
        .size:           4
        .value_kind:     by_value
      - .offset:         76
        .size:           4
        .value_kind:     by_value
      - .address_space:  global
        .offset:         80
        .size:           8
        .value_kind:     global_buffer
      - .address_space:  global
        .offset:         88
        .size:           8
        .value_kind:     global_buffer
      - .offset:         96
        .size:           4
        .value_kind:     hidden_block_count_x
      - .offset:         100
        .size:           4
        .value_kind:     hidden_block_count_y
      - .offset:         104
        .size:           4
        .value_kind:     hidden_block_count_z
      - .offset:         108
        .size:           2
        .value_kind:     hidden_group_size_x
      - .offset:         110
        .size:           2
        .value_kind:     hidden_group_size_y
      - .offset:         112
        .size:           2
        .value_kind:     hidden_group_size_z
      - .offset:         114
        .size:           2
        .value_kind:     hidden_remainder_x
      - .offset:         116
        .size:           2
        .value_kind:     hidden_remainder_y
      - .offset:         118
        .size:           2
        .value_kind:     hidden_remainder_z
      - .offset:         136
        .size:           8
        .value_kind:     hidden_global_offset_x
      - .offset:         144
        .size:           8
        .value_kind:     hidden_global_offset_y
      - .offset:         152
        .size:           8
        .value_kind:     hidden_global_offset_z
      - .offset:         160
        .size:           2
        .value_kind:     hidden_grid_dims
    .group_segment_fixed_size: 0
    .kernarg_segment_align: 8
    .kernarg_segment_size: 352
    .language:       OpenCL C
    .language_version:
      - 2
      - 0
    .max_flat_workgroup_size: 1024
    .name:           _ZN2at6native12_GLOBAL__N_121max_pool_forward_nchwIN3c104HalfEiEEvT0_PKT_llliiiiiiiiiiPS6_Pl
    .private_segment_fixed_size: 0
    .sgpr_count:     51
    .sgpr_spill_count: 0
    .symbol:         _ZN2at6native12_GLOBAL__N_121max_pool_forward_nchwIN3c104HalfEiEEvT0_PKT_llliiiiiiiiiiPS6_Pl.kd
    .uniform_work_group_size: 1
    .uses_dynamic_stack: false
    .vgpr_count:     27
    .vgpr_spill_count: 0
    .wavefront_size: 32
    .workgroup_processor_mode: 1
  - .args:
      - .offset:         0
        .size:           8
        .value_kind:     by_value
      - .address_space:  global
        .offset:         8
        .size:           8
        .value_kind:     global_buffer
      - .offset:         16
        .size:           8
        .value_kind:     by_value
      - .offset:         24
        .size:           8
        .value_kind:     by_value
      - .offset:         32
        .size:           8
        .value_kind:     by_value
      - .offset:         40
        .size:           4
        .value_kind:     by_value
      - .offset:         44
        .size:           4
        .value_kind:     by_value
      - .offset:         48
        .size:           4
        .value_kind:     by_value
      - .offset:         52
        .size:           4
        .value_kind:     by_value
      - .offset:         56
        .size:           4
        .value_kind:     by_value
      - .offset:         60
        .size:           4
        .value_kind:     by_value
      - .offset:         64
        .size:           4
        .value_kind:     by_value
      - .offset:         68
        .size:           4
        .value_kind:     by_value
      - .offset:         72
        .size:           4
        .value_kind:     by_value
      - .offset:         76
        .size:           4
        .value_kind:     by_value
      - .address_space:  global
        .offset:         80
        .size:           8
        .value_kind:     global_buffer
      - .address_space:  global
        .offset:         88
        .size:           8
        .value_kind:     global_buffer
      - .offset:         96
        .size:           4
        .value_kind:     hidden_block_count_x
      - .offset:         100
        .size:           4
        .value_kind:     hidden_block_count_y
      - .offset:         104
        .size:           4
        .value_kind:     hidden_block_count_z
      - .offset:         108
        .size:           2
        .value_kind:     hidden_group_size_x
      - .offset:         110
        .size:           2
        .value_kind:     hidden_group_size_y
      - .offset:         112
        .size:           2
        .value_kind:     hidden_group_size_z
      - .offset:         114
        .size:           2
        .value_kind:     hidden_remainder_x
      - .offset:         116
        .size:           2
        .value_kind:     hidden_remainder_y
      - .offset:         118
        .size:           2
        .value_kind:     hidden_remainder_z
      - .offset:         136
        .size:           8
        .value_kind:     hidden_global_offset_x
      - .offset:         144
        .size:           8
        .value_kind:     hidden_global_offset_y
      - .offset:         152
        .size:           8
        .value_kind:     hidden_global_offset_z
      - .offset:         160
        .size:           2
        .value_kind:     hidden_grid_dims
    .group_segment_fixed_size: 0
    .kernarg_segment_align: 8
    .kernarg_segment_size: 352
    .language:       OpenCL C
    .language_version:
      - 2
      - 0
    .max_flat_workgroup_size: 1024
    .name:           _ZN2at6native12_GLOBAL__N_121max_pool_forward_nchwIN3c104HalfElEEvT0_PKT_llliiiiiiiiiiPS6_Pl
    .private_segment_fixed_size: 0
    .sgpr_count:     51
    .sgpr_spill_count: 0
    .symbol:         _ZN2at6native12_GLOBAL__N_121max_pool_forward_nchwIN3c104HalfElEEvT0_PKT_llliiiiiiiiiiPS6_Pl.kd
    .uniform_work_group_size: 1
    .uses_dynamic_stack: false
    .vgpr_count:     25
    .vgpr_spill_count: 0
    .wavefront_size: 32
    .workgroup_processor_mode: 1
  - .args:
      - .address_space:  global
        .offset:         0
        .size:           8
        .value_kind:     global_buffer
      - .offset:         8
        .size:           4
        .value_kind:     by_value
      - .offset:         12
        .size:           4
        .value_kind:     by_value
      - .offset:         16
        .size:           4
        .value_kind:     by_value
      - .offset:         20
        .size:           4
        .value_kind:     by_value
      - .offset:         24
        .size:           4
        .value_kind:     by_value
      - .offset:         28
        .size:           4
        .value_kind:     by_value
      - .offset:         32
        .size:           4
        .value_kind:     by_value
      - .offset:         36
        .size:           4
        .value_kind:     by_value
      - .offset:         40
        .size:           4
        .value_kind:     by_value
      - .offset:         44
        .size:           4
        .value_kind:     by_value
      - .offset:         48
        .size:           4
        .value_kind:     by_value
      - .offset:         52
        .size:           4
        .value_kind:     by_value
      - .offset:         56
        .size:           4
        .value_kind:     by_value
      - .offset:         60
        .size:           4
        .value_kind:     by_value
      - .offset:         64
        .size:           4
        .value_kind:     by_value
      - .offset:         68
        .size:           4
        .value_kind:     by_value
      - .offset:         72
        .size:           4
        .value_kind:     by_value
      - .offset:         76
        .size:           4
        .value_kind:     by_value
      - .offset:         80
        .size:           4
        .value_kind:     by_value
      - .offset:         84
        .size:           4
        .value_kind:     by_value
      - .address_space:  global
        .offset:         88
        .size:           8
        .value_kind:     global_buffer
      - .address_space:  global
        .offset:         96
        .size:           8
        .value_kind:     global_buffer
      - .offset:         104
        .size:           4
        .value_kind:     hidden_block_count_x
      - .offset:         108
        .size:           4
        .value_kind:     hidden_block_count_y
      - .offset:         112
        .size:           4
        .value_kind:     hidden_block_count_z
      - .offset:         116
        .size:           2
        .value_kind:     hidden_group_size_x
      - .offset:         118
        .size:           2
        .value_kind:     hidden_group_size_y
      - .offset:         120
        .size:           2
        .value_kind:     hidden_group_size_z
      - .offset:         122
        .size:           2
        .value_kind:     hidden_remainder_x
      - .offset:         124
        .size:           2
        .value_kind:     hidden_remainder_y
      - .offset:         126
        .size:           2
        .value_kind:     hidden_remainder_z
      - .offset:         144
        .size:           8
        .value_kind:     hidden_global_offset_x
      - .offset:         152
        .size:           8
        .value_kind:     hidden_global_offset_y
      - .offset:         160
        .size:           8
        .value_kind:     hidden_global_offset_z
      - .offset:         168
        .size:           2
        .value_kind:     hidden_grid_dims
      - .offset:         224
        .size:           4
        .value_kind:     hidden_dynamic_lds_size
    .group_segment_fixed_size: 0
    .kernarg_segment_align: 8
    .kernarg_segment_size: 360
    .language:       OpenCL C
    .language_version:
      - 2
      - 0
    .max_flat_workgroup_size: 256
    .name:           _ZN2at6native12_GLOBAL__N_121max_pool_forward_nhwcIN3c108BFloat16EiEEvPKT_iT0_S8_S8_S8_S8_iiiiiiiiS8_S8_S8_S8_iiPS5_Pl
    .private_segment_fixed_size: 0
    .sgpr_count:     50
    .sgpr_spill_count: 0
    .symbol:         _ZN2at6native12_GLOBAL__N_121max_pool_forward_nhwcIN3c108BFloat16EiEEvPKT_iT0_S8_S8_S8_S8_iiiiiiiiS8_S8_S8_S8_iiPS5_Pl.kd
    .uniform_work_group_size: 1
    .uses_dynamic_stack: false
    .vgpr_count:     46
    .vgpr_spill_count: 0
    .wavefront_size: 32
    .workgroup_processor_mode: 1
  - .args:
      - .address_space:  global
        .offset:         0
        .size:           8
        .value_kind:     global_buffer
      - .offset:         8
        .size:           4
        .value_kind:     by_value
      - .offset:         16
        .size:           8
        .value_kind:     by_value
      - .offset:         24
        .size:           8
        .value_kind:     by_value
      - .offset:         32
        .size:           8
        .value_kind:     by_value
      - .offset:         40
        .size:           8
        .value_kind:     by_value
      - .offset:         48
        .size:           8
        .value_kind:     by_value
      - .offset:         56
        .size:           4
        .value_kind:     by_value
      - .offset:         60
        .size:           4
        .value_kind:     by_value
      - .offset:         64
        .size:           4
        .value_kind:     by_value
      - .offset:         68
        .size:           4
        .value_kind:     by_value
      - .offset:         72
        .size:           4
        .value_kind:     by_value
      - .offset:         76
        .size:           4
        .value_kind:     by_value
      - .offset:         80
        .size:           4
        .value_kind:     by_value
      - .offset:         84
        .size:           4
        .value_kind:     by_value
      - .offset:         88
        .size:           8
        .value_kind:     by_value
      - .offset:         96
        .size:           8
        .value_kind:     by_value
      - .offset:         104
        .size:           8
        .value_kind:     by_value
      - .offset:         112
        .size:           8
        .value_kind:     by_value
      - .offset:         120
        .size:           4
        .value_kind:     by_value
      - .offset:         124
        .size:           4
        .value_kind:     by_value
      - .address_space:  global
        .offset:         128
        .size:           8
        .value_kind:     global_buffer
      - .address_space:  global
        .offset:         136
        .size:           8
        .value_kind:     global_buffer
      - .offset:         144
        .size:           4
        .value_kind:     hidden_block_count_x
      - .offset:         148
        .size:           4
        .value_kind:     hidden_block_count_y
      - .offset:         152
        .size:           4
        .value_kind:     hidden_block_count_z
      - .offset:         156
        .size:           2
        .value_kind:     hidden_group_size_x
      - .offset:         158
        .size:           2
        .value_kind:     hidden_group_size_y
      - .offset:         160
        .size:           2
        .value_kind:     hidden_group_size_z
      - .offset:         162
        .size:           2
        .value_kind:     hidden_remainder_x
      - .offset:         164
        .size:           2
        .value_kind:     hidden_remainder_y
      - .offset:         166
        .size:           2
        .value_kind:     hidden_remainder_z
      - .offset:         184
        .size:           8
        .value_kind:     hidden_global_offset_x
      - .offset:         192
        .size:           8
        .value_kind:     hidden_global_offset_y
      - .offset:         200
        .size:           8
        .value_kind:     hidden_global_offset_z
      - .offset:         208
        .size:           2
        .value_kind:     hidden_grid_dims
      - .offset:         264
        .size:           4
        .value_kind:     hidden_dynamic_lds_size
    .group_segment_fixed_size: 0
    .kernarg_segment_align: 8
    .kernarg_segment_size: 400
    .language:       OpenCL C
    .language_version:
      - 2
      - 0
    .max_flat_workgroup_size: 256
    .name:           _ZN2at6native12_GLOBAL__N_121max_pool_forward_nhwcIN3c108BFloat16ElEEvPKT_iT0_S8_S8_S8_S8_iiiiiiiiS8_S8_S8_S8_iiPS5_Pl
    .private_segment_fixed_size: 0
    .sgpr_count:     68
    .sgpr_spill_count: 0
    .symbol:         _ZN2at6native12_GLOBAL__N_121max_pool_forward_nhwcIN3c108BFloat16ElEEvPKT_iT0_S8_S8_S8_S8_iiiiiiiiS8_S8_S8_S8_iiPS5_Pl.kd
    .uniform_work_group_size: 1
    .uses_dynamic_stack: false
    .vgpr_count:     64
    .vgpr_spill_count: 0
    .wavefront_size: 32
    .workgroup_processor_mode: 1
  - .args:
      - .offset:         0
        .size:           4
        .value_kind:     by_value
      - .address_space:  global
        .offset:         8
        .size:           8
        .value_kind:     global_buffer
      - .offset:         16
        .size:           8
        .value_kind:     by_value
      - .offset:         24
        .size:           8
        .value_kind:     by_value
      - .offset:         32
        .size:           8
        .value_kind:     by_value
      - .offset:         40
        .size:           4
        .value_kind:     by_value
      - .offset:         44
        .size:           4
        .value_kind:     by_value
      - .offset:         48
        .size:           4
        .value_kind:     by_value
      - .offset:         52
        .size:           4
        .value_kind:     by_value
      - .offset:         56
        .size:           4
        .value_kind:     by_value
      - .offset:         60
        .size:           4
        .value_kind:     by_value
      - .offset:         64
        .size:           4
        .value_kind:     by_value
      - .offset:         68
        .size:           4
        .value_kind:     by_value
      - .offset:         72
        .size:           4
        .value_kind:     by_value
      - .offset:         76
        .size:           4
        .value_kind:     by_value
      - .address_space:  global
        .offset:         80
        .size:           8
        .value_kind:     global_buffer
      - .address_space:  global
        .offset:         88
        .size:           8
        .value_kind:     global_buffer
      - .offset:         96
        .size:           4
        .value_kind:     hidden_block_count_x
      - .offset:         100
        .size:           4
        .value_kind:     hidden_block_count_y
      - .offset:         104
        .size:           4
        .value_kind:     hidden_block_count_z
      - .offset:         108
        .size:           2
        .value_kind:     hidden_group_size_x
      - .offset:         110
        .size:           2
        .value_kind:     hidden_group_size_y
      - .offset:         112
        .size:           2
        .value_kind:     hidden_group_size_z
      - .offset:         114
        .size:           2
        .value_kind:     hidden_remainder_x
      - .offset:         116
        .size:           2
        .value_kind:     hidden_remainder_y
      - .offset:         118
        .size:           2
        .value_kind:     hidden_remainder_z
      - .offset:         136
        .size:           8
        .value_kind:     hidden_global_offset_x
      - .offset:         144
        .size:           8
        .value_kind:     hidden_global_offset_y
      - .offset:         152
        .size:           8
        .value_kind:     hidden_global_offset_z
      - .offset:         160
        .size:           2
        .value_kind:     hidden_grid_dims
    .group_segment_fixed_size: 0
    .kernarg_segment_align: 8
    .kernarg_segment_size: 352
    .language:       OpenCL C
    .language_version:
      - 2
      - 0
    .max_flat_workgroup_size: 1024
    .name:           _ZN2at6native12_GLOBAL__N_121max_pool_forward_nchwIN3c108BFloat16EiEEvT0_PKT_llliiiiiiiiiiPS6_Pl
    .private_segment_fixed_size: 0
    .sgpr_count:     51
    .sgpr_spill_count: 0
    .symbol:         _ZN2at6native12_GLOBAL__N_121max_pool_forward_nchwIN3c108BFloat16EiEEvT0_PKT_llliiiiiiiiiiPS6_Pl.kd
    .uniform_work_group_size: 1
    .uses_dynamic_stack: false
    .vgpr_count:     27
    .vgpr_spill_count: 0
    .wavefront_size: 32
    .workgroup_processor_mode: 1
  - .args:
      - .offset:         0
        .size:           8
        .value_kind:     by_value
      - .address_space:  global
        .offset:         8
        .size:           8
        .value_kind:     global_buffer
      - .offset:         16
        .size:           8
        .value_kind:     by_value
      - .offset:         24
        .size:           8
        .value_kind:     by_value
      - .offset:         32
        .size:           8
        .value_kind:     by_value
      - .offset:         40
        .size:           4
        .value_kind:     by_value
      - .offset:         44
        .size:           4
        .value_kind:     by_value
      - .offset:         48
        .size:           4
        .value_kind:     by_value
      - .offset:         52
        .size:           4
        .value_kind:     by_value
      - .offset:         56
        .size:           4
        .value_kind:     by_value
      - .offset:         60
        .size:           4
        .value_kind:     by_value
      - .offset:         64
        .size:           4
        .value_kind:     by_value
      - .offset:         68
        .size:           4
        .value_kind:     by_value
      - .offset:         72
        .size:           4
        .value_kind:     by_value
      - .offset:         76
        .size:           4
        .value_kind:     by_value
      - .address_space:  global
        .offset:         80
        .size:           8
        .value_kind:     global_buffer
      - .address_space:  global
        .offset:         88
        .size:           8
        .value_kind:     global_buffer
      - .offset:         96
        .size:           4
        .value_kind:     hidden_block_count_x
      - .offset:         100
        .size:           4
        .value_kind:     hidden_block_count_y
      - .offset:         104
        .size:           4
        .value_kind:     hidden_block_count_z
      - .offset:         108
        .size:           2
        .value_kind:     hidden_group_size_x
      - .offset:         110
        .size:           2
        .value_kind:     hidden_group_size_y
      - .offset:         112
        .size:           2
        .value_kind:     hidden_group_size_z
      - .offset:         114
        .size:           2
        .value_kind:     hidden_remainder_x
      - .offset:         116
        .size:           2
        .value_kind:     hidden_remainder_y
      - .offset:         118
        .size:           2
        .value_kind:     hidden_remainder_z
      - .offset:         136
        .size:           8
        .value_kind:     hidden_global_offset_x
      - .offset:         144
        .size:           8
        .value_kind:     hidden_global_offset_y
      - .offset:         152
        .size:           8
        .value_kind:     hidden_global_offset_z
      - .offset:         160
        .size:           2
        .value_kind:     hidden_grid_dims
    .group_segment_fixed_size: 0
    .kernarg_segment_align: 8
    .kernarg_segment_size: 352
    .language:       OpenCL C
    .language_version:
      - 2
      - 0
    .max_flat_workgroup_size: 1024
    .name:           _ZN2at6native12_GLOBAL__N_121max_pool_forward_nchwIN3c108BFloat16ElEEvT0_PKT_llliiiiiiiiiiPS6_Pl
    .private_segment_fixed_size: 0
    .sgpr_count:     51
    .sgpr_spill_count: 0
    .symbol:         _ZN2at6native12_GLOBAL__N_121max_pool_forward_nchwIN3c108BFloat16ElEEvT0_PKT_llliiiiiiiiiiPS6_Pl.kd
    .uniform_work_group_size: 1
    .uses_dynamic_stack: false
    .vgpr_count:     25
    .vgpr_spill_count: 0
    .wavefront_size: 32
    .workgroup_processor_mode: 1
  - .args:
      - .address_space:  global
        .offset:         0
        .size:           8
        .value_kind:     global_buffer
      - .address_space:  global
        .offset:         8
        .size:           8
        .value_kind:     global_buffer
      - .offset:         16
        .size:           4
        .value_kind:     by_value
      - .offset:         24
        .size:           8
        .value_kind:     by_value
      - .offset:         32
        .size:           8
        .value_kind:     by_value
      - .offset:         40
        .size:           8
        .value_kind:     by_value
      - .offset:         48
        .size:           4
        .value_kind:     by_value
      - .offset:         52
        .size:           4
        .value_kind:     by_value
      - .offset:         56
        .size:           4
        .value_kind:     by_value
      - .offset:         60
        .size:           4
        .value_kind:     by_value
      - .offset:         64
        .size:           4
        .value_kind:     by_value
      - .offset:         68
        .size:           4
        .value_kind:     by_value
      - .offset:         72
        .size:           4
        .value_kind:     by_value
      - .offset:         76
        .size:           4
        .value_kind:     by_value
      - .offset:         80
        .size:           4
        .value_kind:     by_value
      - .offset:         84
        .size:           4
        .value_kind:     by_value
      - .offset:         88
        .size:           4
        .value_kind:     by_value
      - .offset:         92
        .size:           4
        .value_kind:     by_value
      - .offset:         96
        .size:           4
        .value_kind:     by_value
      - .offset:         100
        .size:           4
        .value_kind:     by_value
      - .offset:         104
        .size:           4
        .value_kind:     by_value
      - .address_space:  global
        .offset:         112
        .size:           8
        .value_kind:     global_buffer
      - .offset:         120
        .size:           4
        .value_kind:     hidden_block_count_x
      - .offset:         124
        .size:           4
        .value_kind:     hidden_block_count_y
      - .offset:         128
        .size:           4
        .value_kind:     hidden_block_count_z
      - .offset:         132
        .size:           2
        .value_kind:     hidden_group_size_x
      - .offset:         134
        .size:           2
        .value_kind:     hidden_group_size_y
      - .offset:         136
        .size:           2
        .value_kind:     hidden_group_size_z
      - .offset:         138
        .size:           2
        .value_kind:     hidden_remainder_x
      - .offset:         140
        .size:           2
        .value_kind:     hidden_remainder_y
      - .offset:         142
        .size:           2
        .value_kind:     hidden_remainder_z
      - .offset:         160
        .size:           8
        .value_kind:     hidden_global_offset_x
      - .offset:         168
        .size:           8
        .value_kind:     hidden_global_offset_y
      - .offset:         176
        .size:           8
        .value_kind:     hidden_global_offset_z
      - .offset:         184
        .size:           2
        .value_kind:     hidden_grid_dims
      - .offset:         240
        .size:           4
        .value_kind:     hidden_dynamic_lds_size
    .group_segment_fixed_size: 0
    .kernarg_segment_align: 8
    .kernarg_segment_size: 376
    .language:       OpenCL C
    .language_version:
      - 2
      - 0
    .max_flat_workgroup_size: 256
    .name:           _ZN2at6native12_GLOBAL__N_122max_pool_backward_nhwcIddEEvPKT_PKlillliiiiiiiiiiiiiiiPS3_
    .private_segment_fixed_size: 0
    .sgpr_count:     50
    .sgpr_spill_count: 0
    .symbol:         _ZN2at6native12_GLOBAL__N_122max_pool_backward_nhwcIddEEvPKT_PKlillliiiiiiiiiiiiiiiPS3_.kd
    .uniform_work_group_size: 1
    .uses_dynamic_stack: false
    .vgpr_count:     55
    .vgpr_spill_count: 0
    .wavefront_size: 32
    .workgroup_processor_mode: 1
  - .args:
      - .address_space:  global
        .offset:         0
        .size:           8
        .value_kind:     global_buffer
      - .address_space:  global
        .offset:         8
        .size:           8
        .value_kind:     global_buffer
      - .offset:         16
        .size:           4
        .value_kind:     by_value
      - .offset:         20
        .size:           4
        .value_kind:     by_value
      - .offset:         24
        .size:           4
        .value_kind:     by_value
      - .offset:         28
        .size:           4
        .value_kind:     by_value
      - .offset:         32
        .size:           4
        .value_kind:     by_value
      - .offset:         36
        .size:           4
        .value_kind:     by_value
      - .offset:         40
        .size:           4
        .value_kind:     by_value
      - .offset:         44
        .size:           4
        .value_kind:     by_value
      - .offset:         48
        .size:           4
        .value_kind:     by_value
      - .offset:         52
        .size:           4
        .value_kind:     by_value
      - .offset:         56
        .size:           4
        .value_kind:     by_value
      - .offset:         60
        .size:           4
        .value_kind:     by_value
      - .offset:         64
        .size:           4
        .value_kind:     by_value
      - .offset:         68
        .size:           4
        .value_kind:     by_value
      - .address_space:  global
        .offset:         72
        .size:           8
        .value_kind:     global_buffer
      - .offset:         80
        .size:           4
        .value_kind:     hidden_block_count_x
      - .offset:         84
        .size:           4
        .value_kind:     hidden_block_count_y
      - .offset:         88
        .size:           4
        .value_kind:     hidden_block_count_z
      - .offset:         92
        .size:           2
        .value_kind:     hidden_group_size_x
      - .offset:         94
        .size:           2
        .value_kind:     hidden_group_size_y
      - .offset:         96
        .size:           2
        .value_kind:     hidden_group_size_z
      - .offset:         98
        .size:           2
        .value_kind:     hidden_remainder_x
      - .offset:         100
        .size:           2
        .value_kind:     hidden_remainder_y
      - .offset:         102
        .size:           2
        .value_kind:     hidden_remainder_z
      - .offset:         120
        .size:           8
        .value_kind:     hidden_global_offset_x
      - .offset:         128
        .size:           8
        .value_kind:     hidden_global_offset_y
      - .offset:         136
        .size:           8
        .value_kind:     hidden_global_offset_z
      - .offset:         144
        .size:           2
        .value_kind:     hidden_grid_dims
    .group_segment_fixed_size: 0
    .kernarg_segment_align: 8
    .kernarg_segment_size: 336
    .language:       OpenCL C
    .language_version:
      - 2
      - 0
    .max_flat_workgroup_size: 256
    .name:           _ZN2at6native12_GLOBAL__N_122max_pool_backward_nchwIddiEEvPKT_PKlT1_S8_S8_S8_S8_S8_iiiiiiiiPS3_
    .private_segment_fixed_size: 0
    .sgpr_count:     53
    .sgpr_spill_count: 0
    .symbol:         _ZN2at6native12_GLOBAL__N_122max_pool_backward_nchwIddiEEvPKT_PKlT1_S8_S8_S8_S8_S8_iiiiiiiiPS3_.kd
    .uniform_work_group_size: 1
    .uses_dynamic_stack: false
    .vgpr_count:     23
    .vgpr_spill_count: 0
    .wavefront_size: 32
    .workgroup_processor_mode: 1
  - .args:
      - .address_space:  global
        .offset:         0
        .size:           8
        .value_kind:     global_buffer
      - .address_space:  global
        .offset:         8
        .size:           8
        .value_kind:     global_buffer
      - .offset:         16
        .size:           8
        .value_kind:     by_value
      - .offset:         24
        .size:           8
        .value_kind:     by_value
      - .offset:         32
        .size:           8
        .value_kind:     by_value
      - .offset:         40
        .size:           8
        .value_kind:     by_value
      - .offset:         48
        .size:           8
        .value_kind:     by_value
      - .offset:         56
        .size:           8
        .value_kind:     by_value
      - .offset:         64
        .size:           4
        .value_kind:     by_value
      - .offset:         68
        .size:           4
        .value_kind:     by_value
      - .offset:         72
        .size:           4
        .value_kind:     by_value
      - .offset:         76
        .size:           4
        .value_kind:     by_value
      - .offset:         80
        .size:           4
        .value_kind:     by_value
      - .offset:         84
        .size:           4
        .value_kind:     by_value
      - .offset:         88
        .size:           4
        .value_kind:     by_value
      - .offset:         92
        .size:           4
        .value_kind:     by_value
      - .address_space:  global
        .offset:         96
        .size:           8
        .value_kind:     global_buffer
      - .offset:         104
        .size:           4
        .value_kind:     hidden_block_count_x
      - .offset:         108
        .size:           4
        .value_kind:     hidden_block_count_y
      - .offset:         112
        .size:           4
        .value_kind:     hidden_block_count_z
      - .offset:         116
        .size:           2
        .value_kind:     hidden_group_size_x
      - .offset:         118
        .size:           2
        .value_kind:     hidden_group_size_y
      - .offset:         120
        .size:           2
        .value_kind:     hidden_group_size_z
      - .offset:         122
        .size:           2
        .value_kind:     hidden_remainder_x
      - .offset:         124
        .size:           2
        .value_kind:     hidden_remainder_y
      - .offset:         126
        .size:           2
        .value_kind:     hidden_remainder_z
      - .offset:         144
        .size:           8
        .value_kind:     hidden_global_offset_x
      - .offset:         152
        .size:           8
        .value_kind:     hidden_global_offset_y
      - .offset:         160
        .size:           8
        .value_kind:     hidden_global_offset_z
      - .offset:         168
        .size:           2
        .value_kind:     hidden_grid_dims
    .group_segment_fixed_size: 0
    .kernarg_segment_align: 8
    .kernarg_segment_size: 360
    .language:       OpenCL C
    .language_version:
      - 2
      - 0
    .max_flat_workgroup_size: 256
    .name:           _ZN2at6native12_GLOBAL__N_122max_pool_backward_nchwIddlEEvPKT_PKlT1_S8_S8_S8_S8_S8_iiiiiiiiPS3_
    .private_segment_fixed_size: 0
    .sgpr_count:     70
    .sgpr_spill_count: 0
    .symbol:         _ZN2at6native12_GLOBAL__N_122max_pool_backward_nchwIddlEEvPKT_PKlT1_S8_S8_S8_S8_S8_iiiiiiiiPS3_.kd
    .uniform_work_group_size: 1
    .uses_dynamic_stack: false
    .vgpr_count:     38
    .vgpr_spill_count: 0
    .wavefront_size: 32
    .workgroup_processor_mode: 1
  - .args:
      - .address_space:  global
        .offset:         0
        .size:           8
        .value_kind:     global_buffer
      - .address_space:  global
        .offset:         8
        .size:           8
        .value_kind:     global_buffer
      - .offset:         16
        .size:           4
        .value_kind:     by_value
      - .offset:         24
        .size:           8
        .value_kind:     by_value
      - .offset:         32
        .size:           8
        .value_kind:     by_value
      - .offset:         40
        .size:           8
        .value_kind:     by_value
      - .offset:         48
        .size:           4
        .value_kind:     by_value
      - .offset:         52
        .size:           4
        .value_kind:     by_value
      - .offset:         56
        .size:           4
        .value_kind:     by_value
      - .offset:         60
        .size:           4
        .value_kind:     by_value
      - .offset:         64
        .size:           4
        .value_kind:     by_value
      - .offset:         68
        .size:           4
        .value_kind:     by_value
      - .offset:         72
        .size:           4
        .value_kind:     by_value
      - .offset:         76
        .size:           4
        .value_kind:     by_value
      - .offset:         80
        .size:           4
        .value_kind:     by_value
      - .offset:         84
        .size:           4
        .value_kind:     by_value
      - .offset:         88
        .size:           4
        .value_kind:     by_value
      - .offset:         92
        .size:           4
        .value_kind:     by_value
      - .offset:         96
        .size:           4
        .value_kind:     by_value
      - .offset:         100
        .size:           4
        .value_kind:     by_value
      - .offset:         104
        .size:           4
        .value_kind:     by_value
      - .address_space:  global
        .offset:         112
        .size:           8
        .value_kind:     global_buffer
      - .offset:         120
        .size:           4
        .value_kind:     hidden_block_count_x
      - .offset:         124
        .size:           4
        .value_kind:     hidden_block_count_y
      - .offset:         128
        .size:           4
        .value_kind:     hidden_block_count_z
      - .offset:         132
        .size:           2
        .value_kind:     hidden_group_size_x
      - .offset:         134
        .size:           2
        .value_kind:     hidden_group_size_y
      - .offset:         136
        .size:           2
        .value_kind:     hidden_group_size_z
      - .offset:         138
        .size:           2
        .value_kind:     hidden_remainder_x
      - .offset:         140
        .size:           2
        .value_kind:     hidden_remainder_y
      - .offset:         142
        .size:           2
        .value_kind:     hidden_remainder_z
      - .offset:         160
        .size:           8
        .value_kind:     hidden_global_offset_x
      - .offset:         168
        .size:           8
        .value_kind:     hidden_global_offset_y
      - .offset:         176
        .size:           8
        .value_kind:     hidden_global_offset_z
      - .offset:         184
        .size:           2
        .value_kind:     hidden_grid_dims
      - .offset:         240
        .size:           4
        .value_kind:     hidden_dynamic_lds_size
    .group_segment_fixed_size: 0
    .kernarg_segment_align: 8
    .kernarg_segment_size: 376
    .language:       OpenCL C
    .language_version:
      - 2
      - 0
    .max_flat_workgroup_size: 256
    .name:           _ZN2at6native12_GLOBAL__N_122max_pool_backward_nhwcIffEEvPKT_PKlillliiiiiiiiiiiiiiiPS3_
    .private_segment_fixed_size: 0
    .sgpr_count:     50
    .sgpr_spill_count: 0
    .symbol:         _ZN2at6native12_GLOBAL__N_122max_pool_backward_nhwcIffEEvPKT_PKlillliiiiiiiiiiiiiiiPS3_.kd
    .uniform_work_group_size: 1
    .uses_dynamic_stack: false
    .vgpr_count:     51
    .vgpr_spill_count: 0
    .wavefront_size: 32
    .workgroup_processor_mode: 1
  - .args:
      - .address_space:  global
        .offset:         0
        .size:           8
        .value_kind:     global_buffer
      - .address_space:  global
        .offset:         8
        .size:           8
        .value_kind:     global_buffer
      - .offset:         16
        .size:           4
        .value_kind:     by_value
      - .offset:         20
        .size:           4
        .value_kind:     by_value
      - .offset:         24
        .size:           4
        .value_kind:     by_value
      - .offset:         28
        .size:           4
        .value_kind:     by_value
      - .offset:         32
        .size:           4
        .value_kind:     by_value
      - .offset:         36
        .size:           4
        .value_kind:     by_value
      - .offset:         40
        .size:           4
        .value_kind:     by_value
      - .offset:         44
        .size:           4
        .value_kind:     by_value
      - .offset:         48
        .size:           4
        .value_kind:     by_value
      - .offset:         52
        .size:           4
        .value_kind:     by_value
      - .offset:         56
        .size:           4
        .value_kind:     by_value
      - .offset:         60
        .size:           4
        .value_kind:     by_value
      - .offset:         64
        .size:           4
        .value_kind:     by_value
      - .offset:         68
        .size:           4
        .value_kind:     by_value
      - .address_space:  global
        .offset:         72
        .size:           8
        .value_kind:     global_buffer
      - .offset:         80
        .size:           4
        .value_kind:     hidden_block_count_x
      - .offset:         84
        .size:           4
        .value_kind:     hidden_block_count_y
      - .offset:         88
        .size:           4
        .value_kind:     hidden_block_count_z
      - .offset:         92
        .size:           2
        .value_kind:     hidden_group_size_x
      - .offset:         94
        .size:           2
        .value_kind:     hidden_group_size_y
      - .offset:         96
        .size:           2
        .value_kind:     hidden_group_size_z
      - .offset:         98
        .size:           2
        .value_kind:     hidden_remainder_x
      - .offset:         100
        .size:           2
        .value_kind:     hidden_remainder_y
      - .offset:         102
        .size:           2
        .value_kind:     hidden_remainder_z
      - .offset:         120
        .size:           8
        .value_kind:     hidden_global_offset_x
      - .offset:         128
        .size:           8
        .value_kind:     hidden_global_offset_y
      - .offset:         136
        .size:           8
        .value_kind:     hidden_global_offset_z
      - .offset:         144
        .size:           2
        .value_kind:     hidden_grid_dims
    .group_segment_fixed_size: 0
    .kernarg_segment_align: 8
    .kernarg_segment_size: 336
    .language:       OpenCL C
    .language_version:
      - 2
      - 0
    .max_flat_workgroup_size: 256
    .name:           _ZN2at6native12_GLOBAL__N_122max_pool_backward_nchwIffiEEvPKT_PKlT1_S8_S8_S8_S8_S8_iiiiiiiiPS3_
    .private_segment_fixed_size: 0
    .sgpr_count:     53
    .sgpr_spill_count: 0
    .symbol:         _ZN2at6native12_GLOBAL__N_122max_pool_backward_nchwIffiEEvPKT_PKlT1_S8_S8_S8_S8_S8_iiiiiiiiPS3_.kd
    .uniform_work_group_size: 1
    .uses_dynamic_stack: false
    .vgpr_count:     21
    .vgpr_spill_count: 0
    .wavefront_size: 32
    .workgroup_processor_mode: 1
  - .args:
      - .address_space:  global
        .offset:         0
        .size:           8
        .value_kind:     global_buffer
      - .address_space:  global
        .offset:         8
        .size:           8
        .value_kind:     global_buffer
      - .offset:         16
        .size:           8
        .value_kind:     by_value
      - .offset:         24
        .size:           8
        .value_kind:     by_value
      - .offset:         32
        .size:           8
        .value_kind:     by_value
      - .offset:         40
        .size:           8
        .value_kind:     by_value
      - .offset:         48
        .size:           8
        .value_kind:     by_value
      - .offset:         56
        .size:           8
        .value_kind:     by_value
      - .offset:         64
        .size:           4
        .value_kind:     by_value
      - .offset:         68
        .size:           4
        .value_kind:     by_value
      - .offset:         72
        .size:           4
        .value_kind:     by_value
      - .offset:         76
        .size:           4
        .value_kind:     by_value
      - .offset:         80
        .size:           4
        .value_kind:     by_value
      - .offset:         84
        .size:           4
        .value_kind:     by_value
      - .offset:         88
        .size:           4
        .value_kind:     by_value
      - .offset:         92
        .size:           4
        .value_kind:     by_value
      - .address_space:  global
        .offset:         96
        .size:           8
        .value_kind:     global_buffer
      - .offset:         104
        .size:           4
        .value_kind:     hidden_block_count_x
      - .offset:         108
        .size:           4
        .value_kind:     hidden_block_count_y
      - .offset:         112
        .size:           4
        .value_kind:     hidden_block_count_z
      - .offset:         116
        .size:           2
        .value_kind:     hidden_group_size_x
      - .offset:         118
        .size:           2
        .value_kind:     hidden_group_size_y
      - .offset:         120
        .size:           2
        .value_kind:     hidden_group_size_z
      - .offset:         122
        .size:           2
        .value_kind:     hidden_remainder_x
      - .offset:         124
        .size:           2
        .value_kind:     hidden_remainder_y
      - .offset:         126
        .size:           2
        .value_kind:     hidden_remainder_z
      - .offset:         144
        .size:           8
        .value_kind:     hidden_global_offset_x
      - .offset:         152
        .size:           8
        .value_kind:     hidden_global_offset_y
      - .offset:         160
        .size:           8
        .value_kind:     hidden_global_offset_z
      - .offset:         168
        .size:           2
        .value_kind:     hidden_grid_dims
    .group_segment_fixed_size: 0
    .kernarg_segment_align: 8
    .kernarg_segment_size: 360
    .language:       OpenCL C
    .language_version:
      - 2
      - 0
    .max_flat_workgroup_size: 256
    .name:           _ZN2at6native12_GLOBAL__N_122max_pool_backward_nchwIfflEEvPKT_PKlT1_S8_S8_S8_S8_S8_iiiiiiiiPS3_
    .private_segment_fixed_size: 0
    .sgpr_count:     80
    .sgpr_spill_count: 0
    .symbol:         _ZN2at6native12_GLOBAL__N_122max_pool_backward_nchwIfflEEvPKT_PKlT1_S8_S8_S8_S8_S8_iiiiiiiiPS3_.kd
    .uniform_work_group_size: 1
    .uses_dynamic_stack: false
    .vgpr_count:     37
    .vgpr_spill_count: 0
    .wavefront_size: 32
    .workgroup_processor_mode: 1
  - .args:
      - .address_space:  global
        .offset:         0
        .size:           8
        .value_kind:     global_buffer
      - .address_space:  global
        .offset:         8
        .size:           8
        .value_kind:     global_buffer
      - .offset:         16
        .size:           4
        .value_kind:     by_value
      - .offset:         24
        .size:           8
        .value_kind:     by_value
      - .offset:         32
        .size:           8
        .value_kind:     by_value
      - .offset:         40
        .size:           8
        .value_kind:     by_value
      - .offset:         48
        .size:           4
        .value_kind:     by_value
      - .offset:         52
        .size:           4
        .value_kind:     by_value
      - .offset:         56
        .size:           4
        .value_kind:     by_value
      - .offset:         60
        .size:           4
        .value_kind:     by_value
      - .offset:         64
        .size:           4
        .value_kind:     by_value
      - .offset:         68
        .size:           4
        .value_kind:     by_value
      - .offset:         72
        .size:           4
        .value_kind:     by_value
      - .offset:         76
        .size:           4
        .value_kind:     by_value
      - .offset:         80
        .size:           4
        .value_kind:     by_value
      - .offset:         84
        .size:           4
        .value_kind:     by_value
      - .offset:         88
        .size:           4
        .value_kind:     by_value
      - .offset:         92
        .size:           4
        .value_kind:     by_value
      - .offset:         96
        .size:           4
        .value_kind:     by_value
      - .offset:         100
        .size:           4
        .value_kind:     by_value
      - .offset:         104
        .size:           4
        .value_kind:     by_value
      - .address_space:  global
        .offset:         112
        .size:           8
        .value_kind:     global_buffer
      - .offset:         120
        .size:           4
        .value_kind:     hidden_block_count_x
      - .offset:         124
        .size:           4
        .value_kind:     hidden_block_count_y
      - .offset:         128
        .size:           4
        .value_kind:     hidden_block_count_z
      - .offset:         132
        .size:           2
        .value_kind:     hidden_group_size_x
      - .offset:         134
        .size:           2
        .value_kind:     hidden_group_size_y
      - .offset:         136
        .size:           2
        .value_kind:     hidden_group_size_z
      - .offset:         138
        .size:           2
        .value_kind:     hidden_remainder_x
      - .offset:         140
        .size:           2
        .value_kind:     hidden_remainder_y
      - .offset:         142
        .size:           2
        .value_kind:     hidden_remainder_z
      - .offset:         160
        .size:           8
        .value_kind:     hidden_global_offset_x
      - .offset:         168
        .size:           8
        .value_kind:     hidden_global_offset_y
      - .offset:         176
        .size:           8
        .value_kind:     hidden_global_offset_z
      - .offset:         184
        .size:           2
        .value_kind:     hidden_grid_dims
      - .offset:         240
        .size:           4
        .value_kind:     hidden_dynamic_lds_size
    .group_segment_fixed_size: 0
    .kernarg_segment_align: 8
    .kernarg_segment_size: 376
    .language:       OpenCL C
    .language_version:
      - 2
      - 0
    .max_flat_workgroup_size: 256
    .name:           _ZN2at6native12_GLOBAL__N_122max_pool_backward_nhwcIN3c104HalfEfEEvPKT_PKlillliiiiiiiiiiiiiiiPS5_
    .private_segment_fixed_size: 0
    .sgpr_count:     50
    .sgpr_spill_count: 0
    .symbol:         _ZN2at6native12_GLOBAL__N_122max_pool_backward_nhwcIN3c104HalfEfEEvPKT_PKlillliiiiiiiiiiiiiiiPS5_.kd
    .uniform_work_group_size: 1
    .uses_dynamic_stack: false
    .vgpr_count:     51
    .vgpr_spill_count: 0
    .wavefront_size: 32
    .workgroup_processor_mode: 1
  - .args:
      - .address_space:  global
        .offset:         0
        .size:           8
        .value_kind:     global_buffer
      - .address_space:  global
        .offset:         8
        .size:           8
        .value_kind:     global_buffer
      - .offset:         16
        .size:           4
        .value_kind:     by_value
      - .offset:         20
        .size:           4
        .value_kind:     by_value
      - .offset:         24
        .size:           4
        .value_kind:     by_value
      - .offset:         28
        .size:           4
        .value_kind:     by_value
      - .offset:         32
        .size:           4
        .value_kind:     by_value
      - .offset:         36
        .size:           4
        .value_kind:     by_value
      - .offset:         40
        .size:           4
        .value_kind:     by_value
      - .offset:         44
        .size:           4
        .value_kind:     by_value
      - .offset:         48
        .size:           4
        .value_kind:     by_value
      - .offset:         52
        .size:           4
        .value_kind:     by_value
      - .offset:         56
        .size:           4
        .value_kind:     by_value
      - .offset:         60
        .size:           4
        .value_kind:     by_value
      - .offset:         64
        .size:           4
        .value_kind:     by_value
      - .offset:         68
        .size:           4
        .value_kind:     by_value
      - .address_space:  global
        .offset:         72
        .size:           8
        .value_kind:     global_buffer
      - .offset:         80
        .size:           4
        .value_kind:     hidden_block_count_x
      - .offset:         84
        .size:           4
        .value_kind:     hidden_block_count_y
      - .offset:         88
        .size:           4
        .value_kind:     hidden_block_count_z
      - .offset:         92
        .size:           2
        .value_kind:     hidden_group_size_x
      - .offset:         94
        .size:           2
        .value_kind:     hidden_group_size_y
      - .offset:         96
        .size:           2
        .value_kind:     hidden_group_size_z
      - .offset:         98
        .size:           2
        .value_kind:     hidden_remainder_x
      - .offset:         100
        .size:           2
        .value_kind:     hidden_remainder_y
      - .offset:         102
        .size:           2
        .value_kind:     hidden_remainder_z
      - .offset:         120
        .size:           8
        .value_kind:     hidden_global_offset_x
      - .offset:         128
        .size:           8
        .value_kind:     hidden_global_offset_y
      - .offset:         136
        .size:           8
        .value_kind:     hidden_global_offset_z
      - .offset:         144
        .size:           2
        .value_kind:     hidden_grid_dims
    .group_segment_fixed_size: 0
    .kernarg_segment_align: 8
    .kernarg_segment_size: 336
    .language:       OpenCL C
    .language_version:
      - 2
      - 0
    .max_flat_workgroup_size: 256
    .name:           _ZN2at6native12_GLOBAL__N_122max_pool_backward_nchwIN3c104HalfEfiEEvPKT_PKlT1_SA_SA_SA_SA_SA_iiiiiiiiPS5_
    .private_segment_fixed_size: 0
    .sgpr_count:     53
    .sgpr_spill_count: 0
    .symbol:         _ZN2at6native12_GLOBAL__N_122max_pool_backward_nchwIN3c104HalfEfiEEvPKT_PKlT1_SA_SA_SA_SA_SA_iiiiiiiiPS5_.kd
    .uniform_work_group_size: 1
    .uses_dynamic_stack: false
    .vgpr_count:     21
    .vgpr_spill_count: 0
    .wavefront_size: 32
    .workgroup_processor_mode: 1
  - .args:
      - .address_space:  global
        .offset:         0
        .size:           8
        .value_kind:     global_buffer
      - .address_space:  global
        .offset:         8
        .size:           8
        .value_kind:     global_buffer
      - .offset:         16
        .size:           8
        .value_kind:     by_value
      - .offset:         24
        .size:           8
        .value_kind:     by_value
      - .offset:         32
        .size:           8
        .value_kind:     by_value
      - .offset:         40
        .size:           8
        .value_kind:     by_value
      - .offset:         48
        .size:           8
        .value_kind:     by_value
      - .offset:         56
        .size:           8
        .value_kind:     by_value
      - .offset:         64
        .size:           4
        .value_kind:     by_value
      - .offset:         68
        .size:           4
        .value_kind:     by_value
      - .offset:         72
        .size:           4
        .value_kind:     by_value
      - .offset:         76
        .size:           4
        .value_kind:     by_value
      - .offset:         80
        .size:           4
        .value_kind:     by_value
      - .offset:         84
        .size:           4
        .value_kind:     by_value
      - .offset:         88
        .size:           4
        .value_kind:     by_value
      - .offset:         92
        .size:           4
        .value_kind:     by_value
      - .address_space:  global
        .offset:         96
        .size:           8
        .value_kind:     global_buffer
      - .offset:         104
        .size:           4
        .value_kind:     hidden_block_count_x
      - .offset:         108
        .size:           4
        .value_kind:     hidden_block_count_y
      - .offset:         112
        .size:           4
        .value_kind:     hidden_block_count_z
      - .offset:         116
        .size:           2
        .value_kind:     hidden_group_size_x
      - .offset:         118
        .size:           2
        .value_kind:     hidden_group_size_y
      - .offset:         120
        .size:           2
        .value_kind:     hidden_group_size_z
      - .offset:         122
        .size:           2
        .value_kind:     hidden_remainder_x
      - .offset:         124
        .size:           2
        .value_kind:     hidden_remainder_y
      - .offset:         126
        .size:           2
        .value_kind:     hidden_remainder_z
      - .offset:         144
        .size:           8
        .value_kind:     hidden_global_offset_x
      - .offset:         152
        .size:           8
        .value_kind:     hidden_global_offset_y
      - .offset:         160
        .size:           8
        .value_kind:     hidden_global_offset_z
      - .offset:         168
        .size:           2
        .value_kind:     hidden_grid_dims
    .group_segment_fixed_size: 0
    .kernarg_segment_align: 8
    .kernarg_segment_size: 360
    .language:       OpenCL C
    .language_version:
      - 2
      - 0
    .max_flat_workgroup_size: 256
    .name:           _ZN2at6native12_GLOBAL__N_122max_pool_backward_nchwIN3c104HalfEflEEvPKT_PKlT1_SA_SA_SA_SA_SA_iiiiiiiiPS5_
    .private_segment_fixed_size: 0
    .sgpr_count:     80
    .sgpr_spill_count: 0
    .symbol:         _ZN2at6native12_GLOBAL__N_122max_pool_backward_nchwIN3c104HalfEflEEvPKT_PKlT1_SA_SA_SA_SA_SA_iiiiiiiiPS5_.kd
    .uniform_work_group_size: 1
    .uses_dynamic_stack: false
    .vgpr_count:     37
    .vgpr_spill_count: 0
    .wavefront_size: 32
    .workgroup_processor_mode: 1
  - .args:
      - .address_space:  global
        .offset:         0
        .size:           8
        .value_kind:     global_buffer
      - .address_space:  global
        .offset:         8
        .size:           8
        .value_kind:     global_buffer
      - .offset:         16
        .size:           4
        .value_kind:     by_value
      - .offset:         24
        .size:           8
        .value_kind:     by_value
      - .offset:         32
        .size:           8
        .value_kind:     by_value
      - .offset:         40
        .size:           8
        .value_kind:     by_value
      - .offset:         48
        .size:           4
        .value_kind:     by_value
      - .offset:         52
        .size:           4
        .value_kind:     by_value
      - .offset:         56
        .size:           4
        .value_kind:     by_value
      - .offset:         60
        .size:           4
        .value_kind:     by_value
      - .offset:         64
        .size:           4
        .value_kind:     by_value
      - .offset:         68
        .size:           4
        .value_kind:     by_value
      - .offset:         72
        .size:           4
        .value_kind:     by_value
      - .offset:         76
        .size:           4
        .value_kind:     by_value
      - .offset:         80
        .size:           4
        .value_kind:     by_value
      - .offset:         84
        .size:           4
        .value_kind:     by_value
      - .offset:         88
        .size:           4
        .value_kind:     by_value
      - .offset:         92
        .size:           4
        .value_kind:     by_value
      - .offset:         96
        .size:           4
        .value_kind:     by_value
      - .offset:         100
        .size:           4
        .value_kind:     by_value
      - .offset:         104
        .size:           4
        .value_kind:     by_value
      - .address_space:  global
        .offset:         112
        .size:           8
        .value_kind:     global_buffer
      - .offset:         120
        .size:           4
        .value_kind:     hidden_block_count_x
      - .offset:         124
        .size:           4
        .value_kind:     hidden_block_count_y
      - .offset:         128
        .size:           4
        .value_kind:     hidden_block_count_z
      - .offset:         132
        .size:           2
        .value_kind:     hidden_group_size_x
      - .offset:         134
        .size:           2
        .value_kind:     hidden_group_size_y
      - .offset:         136
        .size:           2
        .value_kind:     hidden_group_size_z
      - .offset:         138
        .size:           2
        .value_kind:     hidden_remainder_x
      - .offset:         140
        .size:           2
        .value_kind:     hidden_remainder_y
      - .offset:         142
        .size:           2
        .value_kind:     hidden_remainder_z
      - .offset:         160
        .size:           8
        .value_kind:     hidden_global_offset_x
      - .offset:         168
        .size:           8
        .value_kind:     hidden_global_offset_y
      - .offset:         176
        .size:           8
        .value_kind:     hidden_global_offset_z
      - .offset:         184
        .size:           2
        .value_kind:     hidden_grid_dims
      - .offset:         240
        .size:           4
        .value_kind:     hidden_dynamic_lds_size
    .group_segment_fixed_size: 0
    .kernarg_segment_align: 8
    .kernarg_segment_size: 376
    .language:       OpenCL C
    .language_version:
      - 2
      - 0
    .max_flat_workgroup_size: 256
    .name:           _ZN2at6native12_GLOBAL__N_122max_pool_backward_nhwcIN3c108BFloat16EfEEvPKT_PKlillliiiiiiiiiiiiiiiPS5_
    .private_segment_fixed_size: 0
    .sgpr_count:     50
    .sgpr_spill_count: 0
    .symbol:         _ZN2at6native12_GLOBAL__N_122max_pool_backward_nhwcIN3c108BFloat16EfEEvPKT_PKlillliiiiiiiiiiiiiiiPS5_.kd
    .uniform_work_group_size: 1
    .uses_dynamic_stack: false
    .vgpr_count:     51
    .vgpr_spill_count: 0
    .wavefront_size: 32
    .workgroup_processor_mode: 1
  - .args:
      - .address_space:  global
        .offset:         0
        .size:           8
        .value_kind:     global_buffer
      - .address_space:  global
        .offset:         8
        .size:           8
        .value_kind:     global_buffer
      - .offset:         16
        .size:           4
        .value_kind:     by_value
      - .offset:         20
        .size:           4
        .value_kind:     by_value
      - .offset:         24
        .size:           4
        .value_kind:     by_value
      - .offset:         28
        .size:           4
        .value_kind:     by_value
      - .offset:         32
        .size:           4
        .value_kind:     by_value
      - .offset:         36
        .size:           4
        .value_kind:     by_value
      - .offset:         40
        .size:           4
        .value_kind:     by_value
      - .offset:         44
        .size:           4
        .value_kind:     by_value
      - .offset:         48
        .size:           4
        .value_kind:     by_value
      - .offset:         52
        .size:           4
        .value_kind:     by_value
      - .offset:         56
        .size:           4
        .value_kind:     by_value
      - .offset:         60
        .size:           4
        .value_kind:     by_value
      - .offset:         64
        .size:           4
        .value_kind:     by_value
      - .offset:         68
        .size:           4
        .value_kind:     by_value
      - .address_space:  global
        .offset:         72
        .size:           8
        .value_kind:     global_buffer
      - .offset:         80
        .size:           4
        .value_kind:     hidden_block_count_x
      - .offset:         84
        .size:           4
        .value_kind:     hidden_block_count_y
      - .offset:         88
        .size:           4
        .value_kind:     hidden_block_count_z
      - .offset:         92
        .size:           2
        .value_kind:     hidden_group_size_x
      - .offset:         94
        .size:           2
        .value_kind:     hidden_group_size_y
      - .offset:         96
        .size:           2
        .value_kind:     hidden_group_size_z
      - .offset:         98
        .size:           2
        .value_kind:     hidden_remainder_x
      - .offset:         100
        .size:           2
        .value_kind:     hidden_remainder_y
      - .offset:         102
        .size:           2
        .value_kind:     hidden_remainder_z
      - .offset:         120
        .size:           8
        .value_kind:     hidden_global_offset_x
      - .offset:         128
        .size:           8
        .value_kind:     hidden_global_offset_y
      - .offset:         136
        .size:           8
        .value_kind:     hidden_global_offset_z
      - .offset:         144
        .size:           2
        .value_kind:     hidden_grid_dims
    .group_segment_fixed_size: 0
    .kernarg_segment_align: 8
    .kernarg_segment_size: 336
    .language:       OpenCL C
    .language_version:
      - 2
      - 0
    .max_flat_workgroup_size: 256
    .name:           _ZN2at6native12_GLOBAL__N_122max_pool_backward_nchwIN3c108BFloat16EfiEEvPKT_PKlT1_SA_SA_SA_SA_SA_iiiiiiiiPS5_
    .private_segment_fixed_size: 0
    .sgpr_count:     53
    .sgpr_spill_count: 0
    .symbol:         _ZN2at6native12_GLOBAL__N_122max_pool_backward_nchwIN3c108BFloat16EfiEEvPKT_PKlT1_SA_SA_SA_SA_SA_iiiiiiiiPS5_.kd
    .uniform_work_group_size: 1
    .uses_dynamic_stack: false
    .vgpr_count:     21
    .vgpr_spill_count: 0
    .wavefront_size: 32
    .workgroup_processor_mode: 1
  - .args:
      - .address_space:  global
        .offset:         0
        .size:           8
        .value_kind:     global_buffer
      - .address_space:  global
        .offset:         8
        .size:           8
        .value_kind:     global_buffer
      - .offset:         16
        .size:           8
        .value_kind:     by_value
      - .offset:         24
        .size:           8
        .value_kind:     by_value
      - .offset:         32
        .size:           8
        .value_kind:     by_value
      - .offset:         40
        .size:           8
        .value_kind:     by_value
      - .offset:         48
        .size:           8
        .value_kind:     by_value
      - .offset:         56
        .size:           8
        .value_kind:     by_value
      - .offset:         64
        .size:           4
        .value_kind:     by_value
      - .offset:         68
        .size:           4
        .value_kind:     by_value
      - .offset:         72
        .size:           4
        .value_kind:     by_value
      - .offset:         76
        .size:           4
        .value_kind:     by_value
      - .offset:         80
        .size:           4
        .value_kind:     by_value
      - .offset:         84
        .size:           4
        .value_kind:     by_value
      - .offset:         88
        .size:           4
        .value_kind:     by_value
      - .offset:         92
        .size:           4
        .value_kind:     by_value
      - .address_space:  global
        .offset:         96
        .size:           8
        .value_kind:     global_buffer
      - .offset:         104
        .size:           4
        .value_kind:     hidden_block_count_x
      - .offset:         108
        .size:           4
        .value_kind:     hidden_block_count_y
      - .offset:         112
        .size:           4
        .value_kind:     hidden_block_count_z
      - .offset:         116
        .size:           2
        .value_kind:     hidden_group_size_x
      - .offset:         118
        .size:           2
        .value_kind:     hidden_group_size_y
      - .offset:         120
        .size:           2
        .value_kind:     hidden_group_size_z
      - .offset:         122
        .size:           2
        .value_kind:     hidden_remainder_x
      - .offset:         124
        .size:           2
        .value_kind:     hidden_remainder_y
      - .offset:         126
        .size:           2
        .value_kind:     hidden_remainder_z
      - .offset:         144
        .size:           8
        .value_kind:     hidden_global_offset_x
      - .offset:         152
        .size:           8
        .value_kind:     hidden_global_offset_y
      - .offset:         160
        .size:           8
        .value_kind:     hidden_global_offset_z
      - .offset:         168
        .size:           2
        .value_kind:     hidden_grid_dims
    .group_segment_fixed_size: 0
    .kernarg_segment_align: 8
    .kernarg_segment_size: 360
    .language:       OpenCL C
    .language_version:
      - 2
      - 0
    .max_flat_workgroup_size: 256
    .name:           _ZN2at6native12_GLOBAL__N_122max_pool_backward_nchwIN3c108BFloat16EflEEvPKT_PKlT1_SA_SA_SA_SA_SA_iiiiiiiiPS5_
    .private_segment_fixed_size: 0
    .sgpr_count:     80
    .sgpr_spill_count: 0
    .symbol:         _ZN2at6native12_GLOBAL__N_122max_pool_backward_nchwIN3c108BFloat16EflEEvPKT_PKlT1_SA_SA_SA_SA_SA_iiiiiiiiPS5_.kd
    .uniform_work_group_size: 1
    .uses_dynamic_stack: false
    .vgpr_count:     37
    .vgpr_spill_count: 0
    .wavefront_size: 32
    .workgroup_processor_mode: 1
amdhsa.target:   amdgcn-amd-amdhsa--gfx1100
amdhsa.version:
  - 1
  - 2
...

	.end_amdgpu_metadata
